;; amdgpu-corpus repo=ROCm/rocFFT kind=compiled arch=gfx950 opt=O3
	.text
	.amdgcn_target "amdgcn-amd-amdhsa--gfx950"
	.amdhsa_code_object_version 6
	.protected	bluestein_single_back_len462_dim1_sp_op_CI_CI ; -- Begin function bluestein_single_back_len462_dim1_sp_op_CI_CI
	.globl	bluestein_single_back_len462_dim1_sp_op_CI_CI
	.p2align	8
	.type	bluestein_single_back_len462_dim1_sp_op_CI_CI,@function
bluestein_single_back_len462_dim1_sp_op_CI_CI: ; @bluestein_single_back_len462_dim1_sp_op_CI_CI
; %bb.0:
	s_load_dwordx4 s[8:11], s[0:1], 0x28
	v_mul_u32_u24_e32 v1, 0x354, v0
	v_lshrrev_b32_e32 v2, 16, v1
	v_mad_u64_u32 v[38:39], s[2:3], s2, 3, v[2:3]
	v_mov_b32_e32 v39, 0
	s_waitcnt lgkmcnt(0)
	v_cmp_gt_u64_e32 vcc, s[8:9], v[38:39]
	s_and_saveexec_b64 s[2:3], vcc
	s_cbranch_execz .LBB0_23
; %bb.1:
	v_mul_lo_u16_e32 v1, 0x4d, v2
	s_mov_b32 s2, 0xaaaaaaab
	v_sub_u16_e32 v134, v0, v1
	v_mul_hi_u32 v0, v38, s2
	s_load_dwordx2 s[8:9], s[0:1], 0x0
	s_load_dwordx2 s[12:13], s[0:1], 0x38
	v_lshrrev_b32_e32 v0, 1, v0
	v_lshl_add_u32 v0, v0, 1, v0
	v_sub_u32_e32 v0, v38, v0
	v_mul_u32_u24_e32 v136, 0x1ce, v0
	v_cmp_gt_u16_e32 vcc, 42, v134
	v_lshlrev_b32_e32 v39, 3, v134
	v_lshlrev_b32_e32 v135, 3, v136
	s_and_saveexec_b64 s[2:3], vcc
	s_cbranch_execz .LBB0_3
; %bb.2:
	s_load_dwordx2 s[4:5], s[0:1], 0x18
	v_mov_b32_e32 v0, s10
	v_mov_b32_e32 v1, s11
	;; [unrolled: 1-line block ×3, first 2 shown]
	v_lshl_add_u32 v48, v134, 3, v135
	s_waitcnt lgkmcnt(0)
	s_load_dwordx4 s[4:7], s[4:5], 0x0
	v_add_u32_e32 v49, v135, v39
	s_waitcnt lgkmcnt(0)
	v_mad_u64_u32 v[2:3], s[10:11], s6, v38, 0
	v_mad_u64_u32 v[4:5], s[10:11], s4, v134, 0
	v_mov_b32_e32 v6, v3
	v_mov_b32_e32 v8, v5
	v_mad_u64_u32 v[6:7], s[6:7], s7, v38, v[6:7]
	v_mov_b32_e32 v3, v6
	v_mad_u64_u32 v[6:7], s[6:7], s5, v134, v[8:9]
	v_mov_b32_e32 v5, v6
	v_lshl_add_u64 v[0:1], v[2:3], 3, v[0:1]
	v_lshl_add_u64 v[0:1], v[4:5], 3, v[0:1]
	global_load_dwordx2 v[2:3], v[0:1], off
	global_load_dwordx2 v[4:5], v39, s[8:9]
	v_mad_u64_u32 v[0:1], s[6:7], s4, v44, v[0:1]
	s_mul_i32 s10, s5, 0x150
	v_add_u32_e32 v1, s10, v1
	v_mad_u64_u32 v[6:7], s[6:7], s4, v44, v[0:1]
	v_add_u32_e32 v7, s10, v7
	global_load_dwordx2 v[8:9], v[0:1], off
	global_load_dwordx2 v[10:11], v[6:7], off
	global_load_dwordx2 v[12:13], v39, s[8:9] offset:336
	v_mad_u64_u32 v[0:1], s[6:7], s4, v44, v[6:7]
	v_add_u32_e32 v1, s10, v1
	v_mad_u64_u32 v[16:17], s[6:7], s4, v44, v[0:1]
	v_add_u32_e32 v17, s10, v17
	global_load_dwordx2 v[6:7], v39, s[8:9] offset:672
	global_load_dwordx2 v[14:15], v39, s[8:9] offset:1008
	global_load_dwordx2 v[18:19], v[0:1], off
	global_load_dwordx2 v[20:21], v[16:17], off
	v_mad_u64_u32 v[0:1], s[6:7], s4, v44, v[16:17]
	v_add_u32_e32 v1, s10, v1
	global_load_dwordx2 v[22:23], v[0:1], off
	v_mad_u64_u32 v[0:1], s[6:7], s4, v44, v[0:1]
	v_add_u32_e32 v1, s10, v1
	global_load_dwordx2 v[16:17], v39, s[8:9] offset:1344
	global_load_dwordx2 v[24:25], v39, s[8:9] offset:1680
	global_load_dwordx2 v[26:27], v[0:1], off
	global_load_dwordx2 v[28:29], v39, s[8:9] offset:2016
	v_mad_u64_u32 v[0:1], s[6:7], s4, v44, v[0:1]
	v_add_u32_e32 v1, s10, v1
	global_load_dwordx2 v[30:31], v[0:1], off
	global_load_dwordx2 v[32:33], v39, s[8:9] offset:2352
	v_mad_u64_u32 v[0:1], s[6:7], s4, v44, v[0:1]
	v_add_u32_e32 v1, s10, v1
	;; [unrolled: 4-line block ×4, first 2 shown]
	global_load_dwordx2 v[44:45], v39, s[8:9] offset:3360
	global_load_dwordx2 v[46:47], v[0:1], off
	s_waitcnt vmcnt(20)
	v_mul_f32_e32 v0, v3, v5
	v_mul_f32_e32 v1, v2, v5
	v_fmac_f32_e32 v0, v2, v4
	v_fma_f32 v1, v3, v4, -v1
	ds_write_b64 v48, v[0:1]
	v_add_u32_e32 v4, 0x800, v49
	s_waitcnt vmcnt(17)
	v_mul_f32_e32 v0, v9, v13
	v_mul_f32_e32 v1, v8, v13
	v_fmac_f32_e32 v0, v8, v12
	v_fma_f32 v1, v9, v12, -v1
	s_waitcnt vmcnt(16)
	v_mul_f32_e32 v2, v11, v7
	v_mul_f32_e32 v3, v10, v7
	v_fmac_f32_e32 v2, v10, v6
	v_fma_f32 v3, v11, v6, -v3
	ds_write2_b64 v49, v[0:1], v[2:3] offset0:42 offset1:84
	s_waitcnt vmcnt(14)
	v_mul_f32_e32 v0, v19, v15
	v_mul_f32_e32 v1, v18, v15
	v_fmac_f32_e32 v0, v18, v14
	v_fma_f32 v1, v19, v14, -v1
	s_waitcnt vmcnt(11)
	v_mul_f32_e32 v2, v21, v17
	v_mul_f32_e32 v3, v20, v17
	v_fmac_f32_e32 v2, v20, v16
	v_fma_f32 v3, v21, v16, -v3
	ds_write2_b64 v49, v[0:1], v[2:3] offset0:126 offset1:168
	s_waitcnt vmcnt(10)
	v_mul_f32_e32 v0, v23, v25
	v_mul_f32_e32 v1, v22, v25
	s_waitcnt vmcnt(8)
	v_mul_f32_e32 v2, v27, v29
	v_mul_f32_e32 v3, v26, v29
	v_fmac_f32_e32 v0, v22, v24
	v_fma_f32 v1, v23, v24, -v1
	v_fmac_f32_e32 v2, v26, v28
	v_fma_f32 v3, v27, v28, -v3
	ds_write2_b64 v49, v[0:1], v[2:3] offset0:210 offset1:252
	s_waitcnt vmcnt(6)
	v_mul_f32_e32 v0, v31, v33
	v_mul_f32_e32 v1, v30, v33
	s_waitcnt vmcnt(4)
	v_mul_f32_e32 v2, v35, v37
	v_mul_f32_e32 v3, v34, v37
	v_fmac_f32_e32 v0, v30, v32
	v_fma_f32 v1, v31, v32, -v1
	;; [unrolled: 11-line block ×3, first 2 shown]
	v_fmac_f32_e32 v2, v46, v44
	v_fma_f32 v3, v47, v44, -v3
	ds_write2_b64 v4, v[0:1], v[2:3] offset0:122 offset1:164
.LBB0_3:
	s_or_b64 exec, exec, s[2:3]
	s_load_dwordx2 s[2:3], s[0:1], 0x20
	s_load_dwordx2 s[10:11], s[0:1], 0x8
	v_mov_b64_e32 v[0:1], 0
	s_waitcnt lgkmcnt(0)
	s_barrier
	s_waitcnt lgkmcnt(0)
                                        ; implicit-def: $vgpr12
                                        ; implicit-def: $vgpr6
                                        ; implicit-def: $vgpr20
                                        ; implicit-def: $vgpr18
                                        ; implicit-def: $vgpr26
	s_and_saveexec_b64 s[0:1], vcc
	s_cbranch_execz .LBB0_5
; %bb.4:
	v_lshl_add_u32 v8, v136, 3, v39
	v_add_u32_e32 v9, 0x400, v8
	ds_read2_b64 v[0:3], v8 offset1:42
	ds_read2_b64 v[16:19], v8 offset0:84 offset1:126
	ds_read2_b64 v[4:7], v8 offset0:168 offset1:210
	;; [unrolled: 1-line block ×3, first 2 shown]
	v_add_u32_e32 v9, 0x800, v8
	ds_read2_b64 v[20:23], v9 offset0:80 offset1:122
	ds_read_b64 v[26:27], v8 offset:3360
.LBB0_5:
	s_or_b64 exec, exec, s[0:1]
	s_waitcnt lgkmcnt(0)
	v_pk_add_f32 v[46:47], v[2:3], v[26:27] neg_lo:[0,1] neg_hi:[0,1]
	s_mov_b32 s22, 0xbf68dda4
	v_pk_add_f32 v[24:25], v[26:27], v[2:3]
	s_mov_b32 s6, 0xbf4178ce
	v_pk_add_f32 v[92:93], v[16:17], v[22:23] neg_lo:[0,1] neg_hi:[0,1]
	s_mov_b32 s4, 0x3ed4b147
	v_pk_mul_f32 v[8:9], v[46:47], s[22:23] op_sel:[1,0] op_sel_hi:[0,0]
	s_mov_b32 s0, 0xbf27a4f4
	v_pk_add_f32 v[94:95], v[22:23], v[16:17]
	v_pk_fma_f32 v[32:33], v[24:25], s[4:5], v[8:9] op_sel_hi:[1,0,1]
	v_pk_fma_f32 v[34:35], v[24:25], s[4:5], v[8:9] op_sel_hi:[1,0,1] neg_lo:[0,0,1] neg_hi:[0,0,1]
	s_mov_b32 s16, 0xbf7d64f0
	v_pk_mul_f32 v[36:37], v[92:93], s[6:7] op_sel:[1,0] op_sel_hi:[0,0]
	v_mov_b32_e32 v8, v32
	v_mov_b32_e32 v9, v35
	s_mov_b32 s14, 0xbe11bafb
	v_pk_mul_f32 v[10:11], v[46:47], s[16:17] op_sel:[1,0] op_sel_hi:[0,0]
	v_pk_fma_f32 v[44:45], v[94:95], s[0:1], v[36:37] op_sel_hi:[1,0,1]
	v_pk_fma_f32 v[48:49], v[94:95], s[0:1], v[36:37] op_sel_hi:[1,0,1] neg_lo:[0,0,1] neg_hi:[0,0,1]
	s_mov_b32 s20, 0x3e903f40
	v_pk_add_f32 v[8:9], v[8:9], v[0:1]
	v_pk_fma_f32 v[28:29], v[24:25], s[14:15], v[10:11] op_sel_hi:[1,0,1]
	v_pk_fma_f32 v[30:31], v[24:25], s[14:15], v[10:11] op_sel_hi:[1,0,1] neg_lo:[0,0,1] neg_hi:[0,0,1]
	v_mov_b32_e32 v36, v44
	v_mov_b32_e32 v37, v49
	s_mov_b32 s18, 0xbf75a155
	v_pk_mul_f32 v[40:41], v[92:93], s[20:21] op_sel:[1,0] op_sel_hi:[0,0]
	v_mov_b32_e32 v10, v28
	v_mov_b32_e32 v11, v31
	v_pk_add_f32 v[8:9], v[36:37], v[8:9]
	v_pk_fma_f32 v[36:37], v[94:95], s[18:19], v[40:41] op_sel_hi:[1,0,1]
	v_pk_fma_f32 v[40:41], v[94:95], s[18:19], v[40:41] op_sel_hi:[1,0,1] neg_lo:[0,0,1] neg_hi:[0,0,1]
	v_pk_add_f32 v[96:97], v[18:19], v[20:21] neg_lo:[0,1] neg_hi:[0,1]
	v_pk_add_f32 v[10:11], v[10:11], v[0:1]
	v_mov_b32_e32 v42, v36
	v_mov_b32_e32 v43, v41
	v_pk_add_f32 v[98:99], v[20:21], v[18:19]
	v_pk_add_f32 v[10:11], v[42:43], v[10:11]
	v_pk_mul_f32 v[42:43], v[96:97], s[20:21] op_sel:[1,0] op_sel_hi:[0,0]
	v_pk_fma_f32 v[54:55], v[98:99], s[18:19], v[42:43] op_sel_hi:[1,0,1]
	v_pk_fma_f32 v[56:57], v[98:99], s[18:19], v[42:43] op_sel_hi:[1,0,1] neg_lo:[0,0,1] neg_hi:[0,0,1]
	v_mov_b32_e32 v42, v54
	v_mov_b32_e32 v43, v57
	s_mov_b32 s20, 0x3f68dda4
	v_pk_add_f32 v[8:9], v[42:43], v[8:9]
	v_pk_mul_f32 v[42:43], v[96:97], s[20:21] op_sel:[1,0] op_sel_hi:[0,0]
	v_pk_fma_f32 v[50:51], v[98:99], s[4:5], v[42:43] op_sel_hi:[1,0,1]
	v_pk_fma_f32 v[52:53], v[98:99], s[4:5], v[42:43] op_sel_hi:[1,0,1] neg_lo:[0,0,1] neg_hi:[0,0,1]
	v_mov_b32_e32 v42, v50
	v_mov_b32_e32 v43, v53
	s_mov_b32 s26, 0x3f7d64f0
	v_pk_add_f32 v[100:101], v[4:5], v[14:15] neg_lo:[0,1] neg_hi:[0,1]
	v_pk_add_f32 v[10:11], v[42:43], v[10:11]
	v_pk_add_f32 v[102:103], v[14:15], v[4:5]
	v_pk_mul_f32 v[42:43], v[100:101], s[26:27] op_sel:[1,0] op_sel_hi:[0,0]
	v_pk_fma_f32 v[62:63], v[102:103], s[14:15], v[42:43] op_sel_hi:[1,0,1]
	v_pk_fma_f32 v[64:65], v[102:103], s[14:15], v[42:43] op_sel_hi:[1,0,1] neg_lo:[0,0,1] neg_hi:[0,0,1]
	v_mov_b32_e32 v42, v62
	v_mov_b32_e32 v43, v65
	s_mov_b32 s28, 0xbf0a6770
	v_pk_add_f32 v[8:9], v[42:43], v[8:9]
	s_mov_b32 s24, 0x3f575c64
	v_pk_mul_f32 v[42:43], v[100:101], s[28:29] op_sel:[1,0] op_sel_hi:[0,0]
	v_pk_fma_f32 v[58:59], v[102:103], s[24:25], v[42:43] op_sel_hi:[1,0,1]
	v_pk_fma_f32 v[60:61], v[102:103], s[24:25], v[42:43] op_sel_hi:[1,0,1] neg_lo:[0,0,1] neg_hi:[0,0,1]
	v_mov_b32_e32 v42, v58
	v_mov_b32_e32 v43, v61
	s_mov_b32 s30, 0x3f0a6770
	v_pk_add_f32 v[112:113], v[6:7], v[12:13] neg_lo:[0,1] neg_hi:[0,1]
	v_pk_add_f32 v[42:43], v[42:43], v[10:11]
	v_pk_add_f32 v[114:115], v[12:13], v[6:7]
	v_pk_mul_f32 v[10:11], v[112:113], s[30:31] op_sel:[1,0] op_sel_hi:[0,0]
	v_pk_fma_f32 v[72:73], v[114:115], s[24:25], v[10:11] op_sel_hi:[1,0,1]
	v_pk_fma_f32 v[74:75], v[114:115], s[24:25], v[10:11] op_sel_hi:[1,0,1] neg_lo:[0,0,1] neg_hi:[0,0,1]
	v_mov_b32_e32 v10, v72
	v_mov_b32_e32 v11, v75
	v_pk_add_f32 v[10:11], v[10:11], v[8:9]
	v_pk_mul_f32 v[8:9], v[112:113], s[6:7] op_sel:[1,0] op_sel_hi:[0,0]
	v_pk_fma_f32 v[66:67], v[114:115], s[0:1], v[8:9] op_sel_hi:[1,0,1]
	v_pk_fma_f32 v[68:69], v[114:115], s[0:1], v[8:9] op_sel_hi:[1,0,1] neg_lo:[0,0,1] neg_hi:[0,0,1]
	v_mov_b32_e32 v8, v66
	v_mov_b32_e32 v9, v69
	v_pk_add_f32 v[8:9], v[8:9], v[42:43]
	v_pk_mul_f32 v[42:43], v[46:47], s[28:29] op_sel:[1,0] op_sel_hi:[0,0]
	v_pk_fma_f32 v[104:105], v[24:25], s[24:25], v[42:43] op_sel_hi:[1,0,1]
	v_pk_fma_f32 v[106:107], v[24:25], s[24:25], v[42:43] op_sel_hi:[1,0,1] neg_lo:[0,0,1] neg_hi:[0,0,1]
	v_pk_mul_f32 v[70:71], v[92:93], s[22:23] op_sel:[1,0] op_sel_hi:[0,0]
	v_mov_b32_e32 v42, v104
	v_mov_b32_e32 v43, v107
	v_pk_fma_f32 v[108:109], v[94:95], s[4:5], v[70:71] op_sel_hi:[1,0,1]
	v_pk_fma_f32 v[110:111], v[94:95], s[4:5], v[70:71] op_sel_hi:[1,0,1] neg_lo:[0,0,1] neg_hi:[0,0,1]
	v_pk_add_f32 v[42:43], v[42:43], v[0:1]
	v_mov_b32_e32 v70, v108
	v_mov_b32_e32 v71, v111
	v_pk_add_f32 v[42:43], v[70:71], v[42:43]
	v_pk_mul_f32 v[70:71], v[46:47], s[6:7] op_sel:[1,0] op_sel_hi:[0,0]
	v_pk_fma_f32 v[120:121], v[24:25], s[0:1], v[70:71] op_sel_hi:[1,0,1]
	v_pk_fma_f32 v[70:71], v[24:25], s[0:1], v[70:71] op_sel_hi:[1,0,1] neg_lo:[0,0,1] neg_hi:[0,0,1]
	v_mov_b32_e32 v76, v120
	v_mov_b32_e32 v77, v71
	v_pk_mul_f32 v[78:79], v[92:93], s[26:27] op_sel:[1,0] op_sel_hi:[0,0]
	v_pk_add_f32 v[80:81], v[76:77], v[0:1]
	v_pk_fma_f32 v[76:77], v[94:95], s[14:15], v[78:79] op_sel_hi:[1,0,1]
	v_pk_fma_f32 v[78:79], v[94:95], s[14:15], v[78:79] op_sel_hi:[1,0,1] neg_lo:[0,0,1] neg_hi:[0,0,1]
	v_mov_b32_e32 v82, v76
	v_mov_b32_e32 v83, v79
	v_pk_add_f32 v[84:85], v[82:83], v[80:81]
	v_pk_mul_f32 v[80:81], v[96:97], s[16:17] op_sel:[1,0] op_sel_hi:[0,0]
	v_pk_fma_f32 v[116:117], v[98:99], s[14:15], v[80:81] op_sel_hi:[1,0,1]
	v_pk_fma_f32 v[118:119], v[98:99], s[14:15], v[80:81] op_sel_hi:[1,0,1] neg_lo:[0,0,1] neg_hi:[0,0,1]
	v_mov_b32_e32 v80, v116
	v_mov_b32_e32 v81, v119
	v_pk_mul_f32 v[82:83], v[96:97], s[28:29] op_sel:[1,0] op_sel_hi:[0,0]
	v_pk_add_f32 v[42:43], v[80:81], v[42:43]
	v_pk_fma_f32 v[80:81], v[98:99], s[24:25], v[82:83] op_sel_hi:[1,0,1]
	v_pk_fma_f32 v[82:83], v[98:99], s[24:25], v[82:83] op_sel_hi:[1,0,1] neg_lo:[0,0,1] neg_hi:[0,0,1]
	v_mov_b32_e32 v86, v80
	v_mov_b32_e32 v87, v83
	v_pk_add_f32 v[88:89], v[86:87], v[84:85]
	v_pk_mul_f32 v[84:85], v[100:101], s[6:7] op_sel:[1,0] op_sel_hi:[0,0]
	v_pk_fma_f32 v[126:127], v[102:103], s[0:1], v[84:85] op_sel_hi:[1,0,1]
	v_pk_fma_f32 v[128:129], v[102:103], s[0:1], v[84:85] op_sel_hi:[1,0,1] neg_lo:[0,0,1] neg_hi:[0,0,1]
	s_mov_b32 s22, 0xbe903f40
	v_mov_b32_e32 v84, v126
	v_mov_b32_e32 v85, v129
	v_pk_mul_f32 v[86:87], v[100:101], s[22:23] op_sel:[1,0] op_sel_hi:[0,0]
	v_pk_add_f32 v[42:43], v[84:85], v[42:43]
	v_pk_fma_f32 v[84:85], v[102:103], s[18:19], v[86:87] op_sel_hi:[1,0,1]
	v_pk_fma_f32 v[86:87], v[102:103], s[18:19], v[86:87] op_sel_hi:[1,0,1] neg_lo:[0,0,1] neg_hi:[0,0,1]
	v_mov_b32_e32 v90, v84
	v_mov_b32_e32 v91, v87
	v_pk_add_f32 v[138:139], v[90:91], v[88:89]
	v_pk_mul_f32 v[88:89], v[112:113], s[22:23] op_sel:[1,0] op_sel_hi:[0,0]
	v_pk_fma_f32 v[130:131], v[114:115], s[18:19], v[88:89] op_sel_hi:[1,0,1]
	v_pk_fma_f32 v[132:133], v[114:115], s[18:19], v[88:89] op_sel_hi:[1,0,1] neg_lo:[0,0,1] neg_hi:[0,0,1]
	v_mov_b32_e32 v88, v130
	v_mov_b32_e32 v89, v133
	v_pk_mul_f32 v[46:47], v[46:47], s[22:23] op_sel:[1,0] op_sel_hi:[0,0]
	v_pk_add_f32 v[42:43], v[88:89], v[42:43]
	v_pk_fma_f32 v[88:89], v[24:25], s[18:19], v[46:47] op_sel_hi:[1,0,1]
	v_pk_fma_f32 v[90:91], v[24:25], s[18:19], v[46:47] op_sel_hi:[1,0,1] neg_lo:[0,0,1] neg_hi:[0,0,1]
	v_pk_mul_f32 v[24:25], v[92:93], s[30:31] op_sel:[1,0] op_sel_hi:[0,0]
	v_pk_fma_f32 v[92:93], v[94:95], s[24:25], v[24:25] op_sel_hi:[1,0,1]
	v_pk_fma_f32 v[94:95], v[94:95], s[24:25], v[24:25] op_sel_hi:[1,0,1] neg_lo:[0,0,1] neg_hi:[0,0,1]
	v_pk_mul_f32 v[24:25], v[96:97], s[6:7] op_sel:[1,0] op_sel_hi:[0,0]
	;; [unrolled: 3-line block ×3, first 2 shown]
	v_pk_fma_f32 v[100:101], v[102:103], s[4:5], v[24:25] op_sel_hi:[1,0,1]
	v_pk_fma_f32 v[102:103], v[102:103], s[4:5], v[24:25] op_sel_hi:[1,0,1] neg_lo:[0,0,1] neg_hi:[0,0,1]
	v_mov_b32_e32 v24, v88
	v_mov_b32_e32 v25, v91
	v_mov_b32_e32 v46, v92
	v_mov_b32_e32 v47, v95
	v_pk_add_f32 v[24:25], v[24:25], v[0:1]
	s_nop 0
	v_pk_add_f32 v[24:25], v[46:47], v[24:25]
	v_mov_b32_e32 v46, v96
	v_mov_b32_e32 v47, v99
	v_pk_add_f32 v[24:25], v[46:47], v[24:25]
	v_mov_b32_e32 v46, v100
	v_mov_b32_e32 v47, v103
	v_pk_add_f32 v[24:25], v[46:47], v[24:25]
	v_pk_mul_f32 v[46:47], v[112:113], s[20:21] op_sel:[1,0] op_sel_hi:[0,0]
	v_pk_fma_f32 v[122:123], v[114:115], s[4:5], v[46:47] op_sel_hi:[1,0,1]
	v_pk_fma_f32 v[124:125], v[114:115], s[4:5], v[46:47] op_sel_hi:[1,0,1] neg_lo:[0,0,1] neg_hi:[0,0,1]
	v_pk_mul_f32 v[46:47], v[112:113], s[16:17] op_sel:[1,0] op_sel_hi:[0,0]
	v_pk_fma_f32 v[112:113], v[114:115], s[14:15], v[46:47] op_sel_hi:[1,0,1]
	v_pk_fma_f32 v[114:115], v[114:115], s[14:15], v[46:47] op_sel_hi:[1,0,1] neg_lo:[0,0,1] neg_hi:[0,0,1]
	v_mov_b32_e32 v46, v112
	v_mov_b32_e32 v47, v115
	v_pk_add_f32 v[46:47], v[46:47], v[24:25]
	v_mov_b32_e32 v24, v122
	v_mov_b32_e32 v25, v125
	v_pk_add_f32 v[24:25], v[24:25], v[138:139]
	v_mul_lo_u16_e32 v100, 11, v134
	s_barrier
	s_and_saveexec_b64 s[0:1], vcc
	s_cbranch_execz .LBB0_7
; %bb.6:
	v_pk_add_f32 v[2:3], v[2:3], v[0:1]
	v_mov_b32_e32 v107, v105
	v_pk_add_f32 v[2:3], v[16:17], v[2:3]
	v_mov_b32_e32 v111, v109
	;; [unrolled: 2-line block ×3, first 2 shown]
	v_pk_add_f32 v[2:3], v[4:5], v[2:3]
	v_pk_add_f32 v[4:5], v[106:107], v[0:1]
	;; [unrolled: 1-line block ×7, first 2 shown]
	v_mov_b32_e32 v129, v127
	v_pk_add_f32 v[2:3], v[20:21], v[2:3]
	v_pk_add_f32 v[4:5], v[128:129], v[4:5]
	;; [unrolled: 1-line block ×3, first 2 shown]
	v_mov_b32_e32 v133, v131
	v_add_lshl_u32 v6, v136, v100, 3
	v_pk_add_f32 v[2:3], v[26:27], v[2:3]
	v_pk_add_f32 v[4:5], v[132:133], v[4:5]
	v_mov_b32_e32 v35, v33
	v_mov_b32_e32 v31, v29
	ds_write2_b64 v6, v[2:3], v[4:5] offset1:1
	v_pk_add_f32 v[2:3], v[34:35], v[0:1]
	v_mov_b32_e32 v49, v45
	v_pk_add_f32 v[4:5], v[30:31], v[0:1]
	v_mov_b32_e32 v41, v37
	;; [unrolled: 2-line block ×8, first 2 shown]
	v_mov_b32_e32 v71, v121
	v_pk_add_f32 v[2:3], v[74:75], v[2:3]
	v_pk_add_f32 v[4:5], v[68:69], v[4:5]
	v_mov_b32_e32 v91, v89
	ds_write2_b64 v6, v[2:3], v[4:5] offset0:2 offset1:3
	v_pk_add_f32 v[2:3], v[70:71], v[0:1]
	v_mov_b32_e32 v79, v77
	v_pk_add_f32 v[0:1], v[90:91], v[0:1]
	v_mov_b32_e32 v95, v93
	;; [unrolled: 2-line block ×8, first 2 shown]
	v_pk_add_f32 v[2:3], v[124:125], v[2:3]
	v_pk_add_f32 v[0:1], v[114:115], v[0:1]
	ds_write2_b64 v6, v[2:3], v[0:1] offset0:4 offset1:5
	ds_write2_b64 v6, v[46:47], v[24:25] offset0:6 offset1:7
	;; [unrolled: 1-line block ×3, first 2 shown]
	ds_write_b64 v6, v[42:43] offset:80
.LBB0_7:
	s_or_b64 exec, exec, s[0:1]
	s_movk_i32 s0, 0x75
	v_mul_lo_u16_sdwa v0, v134, s0 dst_sel:DWORD dst_unused:UNUSED_PAD src0_sel:BYTE_0 src1_sel:DWORD
	v_sub_u16_sdwa v1, v134, v0 dst_sel:DWORD dst_unused:UNUSED_PAD src0_sel:DWORD src1_sel:BYTE_1
	v_lshrrev_b16_e32 v1, 1, v1
	v_and_b32_e32 v1, 0x7f, v1
	v_add_u16_sdwa v0, v1, v0 dst_sel:DWORD dst_unused:UNUSED_PAD src0_sel:DWORD src1_sel:BYTE_1
	v_lshrrev_b16_e32 v26, 3, v0
	v_mul_lo_u16_e32 v0, 11, v26
	v_sub_u16_e32 v0, v134, v0
	v_and_b32_e32 v50, 0xff, v0
	v_mad_u64_u32 v[12:13], s[0:1], v50, 40, s[10:11]
	s_load_dwordx4 s[4:7], s[2:3], 0x0
	s_waitcnt lgkmcnt(0)
	s_barrier
	global_load_dwordx4 v[4:7], v[12:13], off
	global_load_dwordx4 v[0:3], v[12:13], off offset:16
	global_load_dwordx2 v[40:41], v[12:13], off offset:32
	v_add_lshl_u32 v98, v136, v134, 3
	v_add_u32_e32 v20, 0x800, v98
	ds_read2_b64 v[12:15], v98 offset1:77
	ds_read2_b64 v[16:19], v98 offset0:154 offset1:231
	ds_read2_b64 v[20:23], v20 offset0:52 offset1:129
	v_mul_u32_u24_e32 v51, 0x42, v26
	s_mov_b32 s0, 0x3f5db3d7
	s_mov_b32 s1, 0xbf5db3d7
	s_movk_i32 s2, 0x42
	s_waitcnt lgkmcnt(0)
	s_barrier
	s_waitcnt vmcnt(2)
	v_pk_mul_f32 v[26:27], v[14:15], v[4:5] op_sel_hi:[1,0]
	v_mov_b32_e32 v28, v5
	v_mov_b32_e32 v30, v7
	s_waitcnt vmcnt(1)
	v_pk_mul_f32 v[32:33], v[18:19], v[0:1] op_sel_hi:[1,0]
	v_mov_b32_e32 v34, v1
	v_mov_b32_e32 v36, v3
	s_waitcnt vmcnt(0)
	v_pk_mul_f32 v[44:45], v[22:23], v[40:41] op_sel_hi:[1,0]
	v_mov_b32_e32 v48, v41
	v_pk_fma_f32 v[28:29], v[14:15], v[28:29], v[26:27] op_sel:[0,0,1] op_sel_hi:[1,1,0]
	v_pk_fma_f32 v[14:15], v[14:15], v[4:5], v[26:27] op_sel:[0,1,1] op_sel_hi:[1,1,0] neg_lo:[1,0,0] neg_hi:[1,0,0]
	v_pk_mul_f32 v[26:27], v[16:17], v[30:31] op_sel_hi:[1,0]
	v_pk_fma_f32 v[30:31], v[18:19], v[34:35], v[32:33] op_sel:[0,0,1] op_sel_hi:[1,1,0]
	v_pk_fma_f32 v[18:19], v[18:19], v[0:1], v[32:33] op_sel:[0,1,1] op_sel_hi:[1,1,0] neg_lo:[1,0,0] neg_hi:[1,0,0]
	v_pk_mul_f32 v[32:33], v[20:21], v[36:37] op_sel_hi:[1,0]
	v_pk_fma_f32 v[34:35], v[22:23], v[48:49], v[44:45] op_sel:[0,0,1] op_sel_hi:[1,1,0]
	v_pk_fma_f32 v[22:23], v[22:23], v[40:41], v[44:45] op_sel:[0,1,1] op_sel_hi:[1,1,0] neg_lo:[1,0,0] neg_hi:[1,0,0]
	v_mov_b32_e32 v29, v15
	v_pk_fma_f32 v[14:15], v[16:17], v[6:7], v[26:27] op_sel:[0,0,1] op_sel_hi:[1,1,0] neg_lo:[0,0,1] neg_hi:[0,0,1]
	v_pk_fma_f32 v[16:17], v[16:17], v[6:7], v[26:27] op_sel:[0,0,1] op_sel_hi:[1,0,0]
	v_mov_b32_e32 v31, v19
	v_pk_fma_f32 v[18:19], v[20:21], v[2:3], v[32:33] op_sel:[0,0,1] op_sel_hi:[1,1,0] neg_lo:[0,0,1] neg_hi:[0,0,1]
	v_pk_fma_f32 v[20:21], v[20:21], v[2:3], v[32:33] op_sel:[0,0,1] op_sel_hi:[1,0,0]
	v_mov_b32_e32 v35, v23
	v_mov_b32_e32 v15, v17
	;; [unrolled: 1-line block ×3, first 2 shown]
	v_pk_add_f32 v[16:17], v[30:31], v[34:35]
	v_pk_add_f32 v[20:21], v[30:31], v[34:35] neg_lo:[0,1] neg_hi:[0,1]
	v_pk_add_f32 v[22:23], v[28:29], v[30:31]
	v_pk_add_f32 v[26:27], v[14:15], v[18:19]
	v_pk_add_f32 v[30:31], v[14:15], v[18:19] neg_lo:[0,1] neg_hi:[0,1]
	v_pk_fma_f32 v[16:17], v[16:17], 0.5, v[28:29] op_sel_hi:[1,0,1] neg_lo:[1,0,0] neg_hi:[1,0,0]
	v_pk_mul_f32 v[20:21], v[20:21], s[0:1] op_sel_hi:[1,0]
	v_pk_add_f32 v[14:15], v[12:13], v[14:15]
	v_pk_fma_f32 v[12:13], v[26:27], 0.5, v[12:13] op_sel_hi:[1,0,1] neg_lo:[1,0,0] neg_hi:[1,0,0]
	v_pk_mul_f32 v[28:29], v[30:31], s[0:1] op_sel_hi:[1,0]
	v_pk_add_f32 v[30:31], v[20:21], v[16:17] op_sel:[1,0] op_sel_hi:[0,1]
	v_pk_add_f32 v[16:17], v[16:17], v[20:21] op_sel:[0,1] op_sel_hi:[1,0] neg_lo:[0,1] neg_hi:[0,1]
	v_pk_add_f32 v[22:23], v[22:23], v[34:35]
	v_pk_add_f32 v[14:15], v[14:15], v[18:19]
	v_mov_b32_e32 v18, v29
	v_pk_add_f32 v[20:21], v[12:13], v[28:29] op_sel:[0,1] op_sel_hi:[1,0] neg_lo:[0,1] neg_hi:[0,1]
	v_pk_add_f32 v[34:35], v[12:13], v[28:29] op_sel:[0,1] op_sel_hi:[1,0]
	v_mov_b32_e32 v37, v17
	v_mul_f32_e32 v19, 0.5, v31
	v_mul_f32_e32 v45, 0x3f5db3d7, v16
	v_mov_b32_e32 v44, v12
	v_mul_f32_e32 v29, 0x3f5db3d7, v31
	v_mul_f32_e32 v17, 0.5, v16
	v_mov_b32_e32 v16, v13
	v_mov_b32_e32 v36, v30
	v_pk_add_f32 v[26:27], v[14:15], v[22:23] op_sel:[0,1] op_sel_hi:[1,0]
	v_pk_add_f32 v[32:33], v[14:15], v[22:23] op_sel:[0,1] op_sel_hi:[1,0] neg_lo:[0,1] neg_hi:[0,1]
	v_mov_b32_e32 v13, v14
	v_pk_add_f32 v[14:15], v[18:19], v[44:45]
	v_pk_add_f32 v[16:17], v[16:17], v[28:29] neg_lo:[0,1] neg_hi:[0,1]
	v_pk_mul_f32 v[18:19], v[36:37], 0.5 op_sel_hi:[1,0]
	v_mov_b32_e32 v32, v15
	v_mov_b32_e32 v12, v16
	;; [unrolled: 1-line block ×8, first 2 shown]
	v_pk_fma_f32 v[18:19], v[36:37], s[0:1], v[18:19] op_sel:[0,0,1] op_sel_hi:[1,1,0] neg_lo:[0,0,1] neg_hi:[0,0,1]
	v_pk_add_f32 v[34:35], v[14:15], v[32:33] neg_lo:[0,1] neg_hi:[0,1]
	v_pk_add_f32 v[48:49], v[12:13], v[22:23] neg_lo:[0,1] neg_hi:[0,1]
	v_add_u32_e32 v12, v51, v50
	v_cmp_gt_u16_e64 s[0:1], s2, v134
	s_movk_i32 s2, 0x41
	v_pk_add_f32 v[28:29], v[28:29], v[30:31]
	v_pk_add_f32 v[30:31], v[20:21], v[18:19]
	v_pk_add_f32 v[36:37], v[20:21], v[18:19] neg_lo:[0,1] neg_hi:[0,1]
	v_add_lshl_u32 v99, v136, v12, 3
	v_mov_b32_e32 v32, v49
	v_mov_b32_e32 v35, v48
	v_cmp_lt_u16_e64 s[2:3], s2, v134
	ds_write2_b64 v99, v[26:27], v[28:29] offset1:11
	ds_write2_b64 v99, v[30:31], v[32:33] offset0:22 offset1:33
	ds_write2_b64 v99, v[34:35], v[36:37] offset0:44 offset1:55
	s_waitcnt lgkmcnt(0)
	s_barrier
	s_and_saveexec_b64 s[14:15], s[2:3]
	s_xor_b64 s[2:3], exec, s[14:15]
	s_andn2_saveexec_b64 s[2:3], s[2:3]
	s_cbranch_execz .LBB0_9
; %bb.8:
	v_add_u32_e32 v12, 0x800, v98
	ds_read2_b64 v[26:29], v98 offset1:66
	ds_read2_b64 v[34:37], v12 offset0:8 offset1:74
	ds_read2_b64 v[30:33], v98 offset0:132 offset1:198
	ds_read_b64 v[46:47], v98 offset:3168
	s_waitcnt lgkmcnt(2)
	v_mov_b32_e32 v48, v35
	s_waitcnt lgkmcnt(1)
	v_mov_b32_e32 v49, v32
.LBB0_9:
	s_or_b64 exec, exec, s[2:3]
	v_add_u32_e32 v12, 0xffffffbe, v134
	v_cndmask_b32_e64 v12, v12, v134, s[0:1]
	v_mul_hi_i32_i24_e32 v13, 48, v12
	v_mul_i32_i24_e32 v12, 48, v12
	v_lshl_add_u64 v[44:45], s[10:11], 0, v[12:13]
	global_load_dwordx4 v[20:23], v[44:45], off offset:456
	global_load_dwordx4 v[12:15], v[44:45], off offset:440
	;; [unrolled: 1-line block ×3, first 2 shown]
	v_mov_b32_e32 v35, v48
	v_mov_b32_e32 v50, v37
	s_waitcnt lgkmcnt(0)
	v_mov_b32_e32 v51, v46
	v_mov_b32_e32 v32, v31
	s_mov_b32 s10, 0x3d64c772
	s_mov_b32 s11, 0x3f4a47b2
	;; [unrolled: 1-line block ×10, first 2 shown]
	s_waitcnt vmcnt(2)
	v_mul_f32_e32 v65, v48, v23
	v_mov_b32_e32 v44, v23
	v_mov_b32_e32 v45, v22
	v_mul_f32_e32 v64, v49, v20
	v_pk_mul_f32 v[52:53], v[48:49], v[20:21]
	v_mul_f32_e32 v69, v34, v23
	s_waitcnt vmcnt(1)
	v_pk_mul_f32 v[48:49], v[28:29], v[12:13]
	s_waitcnt vmcnt(0)
	v_mov_b32_e32 v23, v18
	v_fma_f32 v22, v34, v22, -v65
	v_pk_mul_f32 v[54:55], v[28:29], v[12:13] op_sel:[0,1] op_sel_hi:[1,0]
	v_pk_mul_f32 v[56:57], v[30:31], v[14:15]
	v_mov_b32_e32 v48, v15
	v_pk_mul_f32 v[58:59], v[36:37], v[16:17]
	v_mov_b32_e32 v52, v17
	v_pk_mul_f32 v[60:61], v[46:47], v[18:19]
	v_pk_mul_f32 v[62:63], v[50:51], v[18:19]
	;; [unrolled: 1-line block ×4, first 2 shown]
	v_fma_f32 v56, -v33, v21, v64
	v_mov_b32_e32 v34, v49
	v_mov_b32_e32 v58, v57
	v_pk_mul_f32 v[48:49], v[30:31], v[48:49]
	v_mov_b32_e32 v60, v59
	v_pk_mul_f32 v[64:65], v[36:37], v[52:53]
	v_mov_b32_e32 v66, v55
	v_mov_b32_e32 v55, v63
	v_mul_f32_e32 v68, v33, v20
	v_mov_b32_e32 v52, v61
	v_pk_fma_f32 v[28:29], v[28:29], v[12:13], v[34:35] neg_lo:[0,0,1] neg_hi:[0,0,1]
	v_pk_fma_f32 v[30:31], v[30:31], v[14:15], v[58:59] neg_lo:[0,0,1] neg_hi:[0,0,1]
	v_pk_fma_f32 v[32:33], v[32:33], v[14:15], v[48:49]
	v_pk_fma_f32 v[36:37], v[36:37], v[16:17], v[60:61] neg_lo:[0,0,1] neg_hi:[0,0,1]
	v_pk_fma_f32 v[48:49], v[50:51], v[16:17], v[64:65]
	v_pk_add_f32 v[50:51], v[66:67], v[54:55]
	v_pk_fma_f32 v[46:47], v[46:47], v[18:19], v[52:53] neg_lo:[0,0,1] neg_hi:[0,0,1]
	v_mov_b32_e32 v29, v35
	v_mov_b32_e32 v31, v68
	v_mov_b32_e32 v37, v53
	v_mov_b32_e32 v35, v30
	v_mov_b32_e32 v34, v51
	v_pk_add_f32 v[54:55], v[32:33], v[48:49]
	v_pk_add_f32 v[32:33], v[32:33], v[48:49] neg_lo:[0,1] neg_hi:[0,1]
	v_mov_b32_e32 v47, v69
	v_mov_b32_e32 v49, v36
	v_pk_add_f32 v[30:31], v[30:31], v[36:37]
	v_pk_add_f32 v[36:37], v[50:51], v[34:35]
	v_mov_b32_e32 v53, v28
	v_pk_add_f32 v[28:29], v[28:29], v[46:47]
	v_mov_b32_e32 v57, v54
	v_mov_b32_e32 v23, v36
	;; [unrolled: 1-line block ×3, first 2 shown]
	v_sub_f32_e32 v33, v22, v56
	v_mov_b32_e32 v52, v50
	v_mov_b32_e32 v58, v51
	;; [unrolled: 1-line block ×4, first 2 shown]
	v_pk_add_f32 v[46:47], v[30:31], v[28:29]
	v_mov_b32_e32 v31, v54
	v_mov_b32_e32 v29, v36
	v_pk_add_f32 v[22:23], v[56:57], v[22:23]
	v_pk_add_f32 v[50:51], v[52:53], v[58:59] neg_lo:[0,1] neg_hi:[0,1]
	v_pk_add_f32 v[34:35], v[34:35], v[48:49] neg_lo:[0,1] neg_hi:[0,1]
	;; [unrolled: 1-line block ×3, first 2 shown]
	v_mov_b32_e32 v31, v47
	v_mov_b32_e32 v29, v47
	v_pk_add_f32 v[46:47], v[46:47], v[22:23]
	v_mov_b32_e32 v23, v36
	v_mov_b32_e32 v49, v51
	;; [unrolled: 1-line block ×3, first 2 shown]
	v_pk_add_f32 v[30:31], v[22:23], v[30:31] neg_lo:[0,1] neg_hi:[0,1]
	v_mov_b32_e32 v23, v54
	v_sub_f32_e32 v55, v32, v50
	v_pk_add_f32 v[56:57], v[32:33], v[34:35]
	v_pk_add_f32 v[36:37], v[48:49], v[32:33] neg_lo:[0,1] neg_hi:[0,1]
	v_mov_b32_e32 v32, v50
	v_pk_add_f32 v[22:23], v[28:29], v[22:23] neg_lo:[0,1] neg_hi:[0,1]
	v_pk_add_f32 v[32:33], v[32:33], v[34:35] neg_lo:[0,1] neg_hi:[0,1]
	v_pk_mul_f32 v[28:29], v[30:31], s[10:11]
	v_pk_mul_f32 v[30:31], v[22:23], s[14:15]
	v_sub_f32_e32 v58, v35, v51
	v_pk_add_f32 v[48:49], v[56:57], v[50:51]
	s_mov_b32 s10, 0x3f3bfb3b
	v_pk_mul_f32 v[34:35], v[32:33], s[18:19]
	v_pk_mul_f32 v[36:37], v[36:37], s[20:21]
	v_mul_f32_e32 v50, 0x3f5ff5aa, v55
	v_mov_b32_e32 v55, v31
	v_mov_b32_e32 v31, v29
	v_pk_add_f32 v[26:27], v[26:27], v[46:47]
	v_mul_f32_e32 v51, 0x3f5ff5aa, v58
	v_pk_fma_f32 v[22:23], v[22:23], s[14:15], v[28:29]
	v_mov_b32_e32 v54, v28
	v_pk_fma_f32 v[28:29], v[52:53], s[10:11], v[30:31] op_sel_hi:[1,0,1] neg_lo:[1,0,1] neg_hi:[1,0,1]
	v_pk_fma_f32 v[30:31], v[32:33], s[18:19], v[36:37]
	v_mov_b32_e32 v32, v36
	v_mov_b32_e32 v33, v35
	v_mov_b32_e32 v35, v37
	v_pk_fma_f32 v[46:47], v[46:47], s[2:3], v[26:27] op_sel_hi:[1,0,1]
	v_pk_fma_f32 v[54:55], v[52:53], s[10:11], v[54:55] op_sel_hi:[1,0,1] neg_lo:[0,0,1] neg_hi:[0,0,1]
	v_pk_add_f32 v[32:33], v[50:51], v[32:33] neg_lo:[0,1] neg_hi:[0,1]
	v_pk_add_f32 v[34:35], v[50:51], v[34:35] neg_lo:[1,1] neg_hi:[1,1]
	v_pk_add_f32 v[22:23], v[22:23], v[46:47]
	v_pk_add_f32 v[50:51], v[54:55], v[46:47]
	;; [unrolled: 1-line block ×3, first 2 shown]
	v_pk_fma_f32 v[28:29], v[48:49], s[16:17], v[30:31] op_sel_hi:[1,0,1]
	v_pk_fma_f32 v[32:33], v[48:49], s[16:17], v[32:33] op_sel_hi:[1,0,1]
	;; [unrolled: 1-line block ×3, first 2 shown]
	v_pk_add_f32 v[46:47], v[22:23], v[28:29]
	v_pk_add_f32 v[22:23], v[22:23], v[28:29] neg_lo:[0,1] neg_hi:[0,1]
	v_pk_add_f32 v[48:49], v[36:37], v[30:31]
	v_pk_add_f32 v[36:37], v[36:37], v[30:31] neg_lo:[0,1] neg_hi:[0,1]
	v_pk_add_f32 v[52:53], v[50:51], v[32:33] neg_lo:[0,1] neg_hi:[0,1]
	v_pk_add_f32 v[34:35], v[50:51], v[32:33]
	v_mov_b32_e32 v28, v46
	v_mov_b32_e32 v29, v23
	;; [unrolled: 1-line block ×9, first 2 shown]
	s_and_saveexec_b64 s[2:3], s[0:1]
	s_cbranch_execz .LBB0_11
; %bb.10:
	v_lshl_add_u32 v46, v136, 3, v39
	v_add_u32_e32 v47, 0x800, v46
	ds_write2_b64 v46, v[26:27], v[28:29] offset1:66
	ds_write2_b64 v46, v[30:31], v[32:33] offset0:132 offset1:198
	ds_write2_b64 v47, v[34:35], v[36:37] offset0:8 offset1:74
	ds_write_b64 v46, v[22:23] offset:3168
.LBB0_11:
	s_or_b64 exec, exec, s[2:3]
	s_waitcnt lgkmcnt(0)
	s_barrier
	s_and_saveexec_b64 s[2:3], vcc
	s_cbranch_execz .LBB0_13
; %bb.12:
	global_load_dwordx2 v[46:47], v39, s[8:9] offset:3696
	s_add_u32 s10, s8, 0xe70
	s_addc_u32 s11, s9, 0
	global_load_dwordx2 v[66:67], v39, s[10:11] offset:336
	global_load_dwordx2 v[68:69], v39, s[10:11] offset:672
	;; [unrolled: 1-line block ×10, first 2 shown]
	v_lshl_add_u32 v52, v134, 3, v135
	ds_read_b64 v[48:49], v52
	v_add_u32_e32 v88, v135, v39
	v_add_u32_e32 v89, 0x800, v88
	s_waitcnt vmcnt(10) lgkmcnt(0)
	v_mul_f32_e32 v50, v49, v47
	v_mul_f32_e32 v51, v48, v47
	v_fma_f32 v50, v48, v46, -v50
	v_fmac_f32_e32 v51, v49, v46
	ds_write_b64 v52, v[50:51]
	ds_read2_b64 v[46:49], v88 offset0:42 offset1:84
	ds_read2_b64 v[50:53], v88 offset0:126 offset1:168
	;; [unrolled: 1-line block ×5, first 2 shown]
	s_waitcnt vmcnt(9) lgkmcnt(4)
	v_mul_f32_e32 v86, v47, v67
	v_mul_f32_e32 v87, v46, v67
	s_waitcnt vmcnt(8)
	v_mul_f32_e32 v90, v49, v69
	v_mul_f32_e32 v67, v48, v69
	s_waitcnt vmcnt(7) lgkmcnt(3)
	v_mul_f32_e32 v91, v51, v71
	v_mul_f32_e32 v69, v50, v71
	s_waitcnt vmcnt(6)
	v_mul_f32_e32 v92, v53, v73
	v_mul_f32_e32 v71, v52, v73
	s_waitcnt vmcnt(5) lgkmcnt(2)
	v_mul_f32_e32 v93, v55, v75
	v_mul_f32_e32 v73, v54, v75
	s_waitcnt vmcnt(4)
	v_mul_f32_e32 v94, v57, v77
	v_mul_f32_e32 v75, v56, v77
	s_waitcnt vmcnt(3) lgkmcnt(1)
	v_mul_f32_e32 v95, v59, v79
	v_mul_f32_e32 v77, v58, v79
	s_waitcnt vmcnt(2)
	v_mul_f32_e32 v96, v61, v81
	v_mul_f32_e32 v79, v60, v81
	s_waitcnt vmcnt(1) lgkmcnt(0)
	v_mul_f32_e32 v97, v63, v83
	v_mul_f32_e32 v81, v62, v83
	s_waitcnt vmcnt(0)
	v_mul_f32_e32 v101, v65, v85
	v_mul_f32_e32 v83, v64, v85
	v_fma_f32 v86, v46, v66, -v86
	v_fmac_f32_e32 v87, v47, v66
	v_fma_f32 v66, v48, v68, -v90
	v_fmac_f32_e32 v67, v49, v68
	;; [unrolled: 2-line block ×10, first 2 shown]
	ds_write2_b64 v88, v[86:87], v[66:67] offset0:42 offset1:84
	ds_write2_b64 v88, v[68:69], v[70:71] offset0:126 offset1:168
	;; [unrolled: 1-line block ×5, first 2 shown]
.LBB0_13:
	s_or_b64 exec, exec, s[2:3]
	s_waitcnt lgkmcnt(0)
	s_barrier
	s_and_saveexec_b64 s[2:3], vcc
	s_cbranch_execz .LBB0_15
; %bb.14:
	v_lshl_add_u32 v42, v136, 3, v39
	v_add_u32_e32 v8, 0x400, v42
	ds_read2_b64 v[26:29], v42 offset1:42
	ds_read2_b64 v[30:33], v42 offset0:84 offset1:126
	ds_read2_b64 v[34:37], v42 offset0:168 offset1:210
	;; [unrolled: 1-line block ×3, first 2 shown]
	v_add_u32_e32 v8, 0x800, v42
	ds_read2_b64 v[8:11], v8 offset0:80 offset1:122
	ds_read_b64 v[42:43], v42 offset:3360
.LBB0_15:
	s_or_b64 exec, exec, s[2:3]
	s_waitcnt lgkmcnt(0)
	v_pk_add_f32 v[46:47], v[28:29], v[42:43] neg_lo:[0,1] neg_hi:[0,1]
	v_pk_add_f32 v[80:81], v[28:29], v[42:43]
	v_mov_b32_e32 v59, v46
	v_mov_b32_e32 v58, v80
	v_mov_b32_e32 v80, v47
	v_pk_add_f32 v[46:47], v[30:31], v[10:11] neg_lo:[0,1] neg_hi:[0,1]
	v_pk_add_f32 v[78:79], v[30:31], v[10:11]
	v_mov_b32_e32 v61, v46
	v_mov_b32_e32 v60, v78
	;; [unrolled: 1-line block ×3, first 2 shown]
	v_pk_add_f32 v[46:47], v[32:33], v[8:9] neg_lo:[0,1] neg_hi:[0,1]
	v_pk_add_f32 v[76:77], v[32:33], v[8:9]
	s_mov_b32 s26, 0xbe903f40
	v_mov_b32_e32 v62, v76
	v_mov_b32_e32 v63, v46
	;; [unrolled: 1-line block ×3, first 2 shown]
	v_pk_add_f32 v[46:47], v[34:35], v[24:25] neg_lo:[0,1] neg_hi:[0,1]
	v_pk_add_f32 v[74:75], v[34:35], v[24:25]
	s_mov_b32 s27, 0xbf75a155
	s_mov_b32 s38, 0x3f0a6770
	v_mov_b32_e32 v64, v74
	v_mov_b32_e32 v65, v46
	;; [unrolled: 1-line block ×3, first 2 shown]
	v_pk_add_f32 v[46:47], v[36:37], v[22:23] neg_lo:[0,1] neg_hi:[0,1]
	v_pk_add_f32 v[72:73], v[36:37], v[22:23]
	v_pk_mul_f32 v[70:71], v[80:81], s[26:27]
	s_mov_b32 s2, s27
	s_mov_b32 s3, s26
	s_mov_b32 s39, 0x3f575c64
	v_mov_b32_e32 v66, v72
	v_mov_b32_e32 v67, v46
	;; [unrolled: 1-line block ×3, first 2 shown]
	v_pk_fma_f32 v[46:47], v[58:59], s[2:3], v[70:71] neg_lo:[0,0,1] neg_hi:[0,0,1]
	v_pk_fma_f32 v[68:69], v[58:59], s[2:3], v[70:71]
	v_pk_mul_f32 v[84:85], v[78:79], s[38:39]
	s_mov_b32 s14, s39
	s_mov_b32 s15, s38
	;; [unrolled: 1-line block ×3, first 2 shown]
	v_mov_b32_e32 v47, v69
	v_pk_fma_f32 v[86:87], v[60:61], s[14:15], v[84:85] neg_lo:[0,0,1] neg_hi:[0,0,1]
	v_pk_fma_f32 v[82:83], v[60:61], s[14:15], v[84:85]
	s_mov_b32 s35, 0xbf27a4f4
	v_pk_add_f32 v[46:47], v[26:27], v[46:47]
	v_mov_b32_e32 v87, v83
	v_pk_mul_f32 v[88:89], v[76:77], s[34:35]
	s_mov_b32 s10, s35
	s_mov_b32 s11, s34
	v_pk_add_f32 v[46:47], v[86:87], v[46:47]
	v_pk_fma_f32 v[90:91], v[62:63], s[10:11], v[88:89] neg_lo:[0,0,1] neg_hi:[0,0,1]
	v_pk_fma_f32 v[86:87], v[62:63], s[10:11], v[88:89]
	s_mov_b32 s28, 0x3f68dda4
	v_mov_b32_e32 v91, v87
	s_mov_b32 s29, 0x3ed4b147
	v_pk_add_f32 v[46:47], v[90:91], v[46:47]
	v_pk_mul_f32 v[90:91], v[74:75], s[28:29]
	s_mov_b32 s20, s29
	s_mov_b32 s21, s28
	v_pk_fma_f32 v[94:95], v[64:65], s[20:21], v[90:91] neg_lo:[0,0,1] neg_hi:[0,0,1]
	v_pk_fma_f32 v[92:93], v[64:65], s[20:21], v[90:91]
	s_mov_b32 s42, 0xbf7d64f0
	v_mov_b32_e32 v95, v93
	s_mov_b32 s43, 0xbe11bafb
	v_pk_add_f32 v[46:47], v[94:95], v[46:47]
	v_pk_mul_f32 v[94:95], v[72:73], s[42:43]
	s_mov_b32 s18, s43
	s_mov_b32 s19, s42
	v_pk_fma_f32 v[102:103], v[66:67], s[18:19], v[94:95] neg_lo:[0,0,1] neg_hi:[0,0,1]
	v_pk_fma_f32 v[96:97], v[66:67], s[18:19], v[94:95]
	v_mov_b32_e32 v56, v4
	v_mov_b32_e32 v103, v97
	;; [unrolled: 1-line block ×16, first 2 shown]
	v_pk_add_f32 v[46:47], v[102:103], v[46:47]
	s_barrier
	s_and_saveexec_b64 s[16:17], vcc
	s_cbranch_execz .LBB0_17
; %bb.16:
	v_pk_add_f32 v[28:29], v[28:29], v[26:27]
	s_mov_b32 s23, 0xbf0a6770
	v_pk_add_f32 v[28:29], v[30:31], v[28:29]
	s_mov_b32 s40, s23
	;; [unrolled: 2-line block ×8, first 2 shown]
	v_pk_add_f32 v[8:9], v[10:11], v[8:9]
	v_pk_mul_f32 v[10:11], v[80:81], s[40:41]
	v_pk_add_f32 v[42:43], v[42:43], v[8:9]
	v_pk_fma_f32 v[8:9], v[58:59], s[22:23], v[10:11]
	v_pk_fma_f32 v[22:23], v[58:59], s[22:23], v[10:11] neg_lo:[1,0,0] neg_hi:[1,0,0]
	v_pk_mul_f32 v[24:25], v[78:79], s[30:31]
	v_mov_b32_e32 v22, v8
	v_pk_add_f32 v[28:29], v[26:27], v[22:23]
	v_pk_fma_f32 v[22:23], v[60:61], s[24:25], v[24:25]
	v_pk_fma_f32 v[30:31], v[60:61], s[24:25], v[24:25] neg_lo:[1,0,0] neg_hi:[1,0,0]
	v_add_lshl_u32 v137, v136, v100, 3
	v_mov_b32_e32 v30, v22
	v_pk_add_f32 v[32:33], v[30:31], v[28:29]
	v_pk_mul_f32 v[30:31], v[76:77], s[42:43]
	v_pk_mul_f32 v[102:103], v[72:73], s[26:27]
	v_pk_fma_f32 v[28:29], v[62:63], s[18:19], v[30:31]
	v_pk_fma_f32 v[34:35], v[62:63], s[18:19], v[30:31] neg_lo:[1,0,0] neg_hi:[1,0,0]
	v_pk_fma_f32 v[104:105], v[66:67], s[2:3], v[102:103] neg_lo:[1,0,0] neg_hi:[1,0,0]
	v_mov_b32_e32 v34, v28
	v_pk_add_f32 v[36:37], v[34:35], v[32:33]
	v_pk_mul_f32 v[34:35], v[74:75], s[34:35]
	v_pk_mul_f32 v[106:107], v[78:79], s[34:35]
	v_pk_fma_f32 v[32:33], v[64:65], s[10:11], v[34:35]
	v_pk_fma_f32 v[100:101], v[64:65], s[10:11], v[34:35] neg_lo:[1,0,0] neg_hi:[1,0,0]
	v_pk_fma_f32 v[108:109], v[60:61], s[10:11], v[106:107]
	v_mov_b32_e32 v100, v32
	v_pk_add_f32 v[100:101], v[100:101], v[36:37]
	v_pk_fma_f32 v[36:37], v[66:67], s[2:3], v[102:103]
	v_pk_fma_f32 v[110:111], v[60:61], s[10:11], v[106:107] neg_lo:[1,0,0] neg_hi:[1,0,0]
	v_mov_b32_e32 v104, v36
	v_pk_add_f32 v[100:101], v[104:105], v[100:101]
	ds_write2_b64 v137, v[42:43], v[100:101] offset1:1
	v_pk_mul_f32 v[42:43], v[80:81], s[30:31]
	s_mov_b32 s31, 0x3e903f40
	v_pk_fma_f32 v[100:101], v[58:59], s[24:25], v[42:43]
	v_pk_fma_f32 v[104:105], v[58:59], s[24:25], v[42:43] neg_lo:[1,0,0] neg_hi:[1,0,0]
	v_mov_b32_e32 v110, v108
	v_mov_b32_e32 v104, v100
	v_pk_add_f32 v[104:105], v[26:27], v[104:105]
	s_mov_b32 s44, s31
	s_mov_b32 s45, s27
	v_pk_add_f32 v[104:105], v[110:111], v[104:105]
	s_mov_b32 s30, s27
	v_pk_mul_f32 v[110:111], v[76:77], s[44:45]
	s_mov_b32 s37, 0x3f7d64f0
	v_pk_fma_f32 v[112:113], v[62:63], s[30:31], v[110:111]
	v_pk_fma_f32 v[114:115], v[62:63], s[30:31], v[110:111] neg_lo:[1,0,0] neg_hi:[1,0,0]
	s_mov_b32 s46, s37
	v_mov_b32_e32 v114, v112
	s_mov_b32 s47, s43
	v_pk_add_f32 v[104:105], v[114:115], v[104:105]
	s_mov_b32 s36, s43
	v_pk_mul_f32 v[114:115], v[74:75], s[46:47]
	v_pk_mul_f32 v[128:129], v[78:79], s[44:45]
	v_pk_fma_f32 v[116:117], v[64:65], s[36:37], v[114:115]
	v_pk_fma_f32 v[118:119], v[64:65], s[36:37], v[114:115] neg_lo:[1,0,0] neg_hi:[1,0,0]
	v_pk_fma_f32 v[130:131], v[60:61], s[30:31], v[128:129]
	v_mov_b32_e32 v118, v116
	v_pk_add_f32 v[104:105], v[118:119], v[104:105]
	v_pk_mul_f32 v[118:119], v[72:73], s[38:39]
	v_pk_fma_f32 v[132:133], v[60:61], s[30:31], v[128:129] neg_lo:[1,0,0] neg_hi:[1,0,0]
	v_pk_fma_f32 v[120:121], v[66:67], s[14:15], v[118:119]
	v_pk_fma_f32 v[122:123], v[66:67], s[14:15], v[118:119] neg_lo:[1,0,0] neg_hi:[1,0,0]
	v_mov_b32_e32 v132, v130
	v_mov_b32_e32 v122, v120
	v_pk_add_f32 v[104:105], v[122:123], v[104:105]
	v_pk_mul_f32 v[122:123], v[80:81], s[42:43]
	v_pk_mul_f32 v[80:81], v[80:81], s[34:35]
	v_pk_fma_f32 v[124:125], v[58:59], s[18:19], v[122:123]
	v_pk_fma_f32 v[126:127], v[58:59], s[18:19], v[122:123] neg_lo:[1,0,0] neg_hi:[1,0,0]
	v_pk_mul_f32 v[78:79], v[78:79], s[46:47]
	v_mov_b32_e32 v126, v124
	v_pk_add_f32 v[126:127], v[26:27], v[126:127]
	v_pk_fma_f32 v[150:151], v[60:61], s[36:37], v[78:79] neg_lo:[1,0,0] neg_hi:[1,0,0]
	v_pk_add_f32 v[126:127], v[132:133], v[126:127]
	v_pk_mul_f32 v[132:133], v[76:77], s[28:29]
	v_pk_mul_f32 v[76:77], v[76:77], s[40:41]
	v_pk_fma_f32 v[138:139], v[62:63], s[20:21], v[132:133]
	v_pk_fma_f32 v[140:141], v[62:63], s[20:21], v[132:133] neg_lo:[1,0,0] neg_hi:[1,0,0]
	v_pk_fma_f32 v[152:153], v[62:63], s[22:23], v[76:77] neg_lo:[1,0,0] neg_hi:[1,0,0]
	v_mov_b32_e32 v140, v138
	v_pk_add_f32 v[126:127], v[140:141], v[126:127]
	v_pk_mul_f32 v[140:141], v[74:75], s[40:41]
	v_pk_mul_f32 v[74:75], v[74:75], s[26:27]
	v_pk_fma_f32 v[142:143], v[64:65], s[22:23], v[140:141]
	v_pk_fma_f32 v[144:145], v[64:65], s[22:23], v[140:141] neg_lo:[1,0,0] neg_hi:[1,0,0]
	v_pk_fma_f32 v[154:155], v[64:65], s[2:3], v[74:75] neg_lo:[1,0,0] neg_hi:[1,0,0]
	v_mov_b32_e32 v144, v142
	;; [unrolled: 7-line block ×3, first 2 shown]
	v_pk_add_f32 v[126:127], v[148:149], v[126:127]
	ds_write2_b64 v137, v[104:105], v[126:127] offset0:2 offset1:3
	v_pk_fma_f32 v[104:105], v[58:59], s[10:11], v[80:81]
	v_pk_fma_f32 v[126:127], v[58:59], s[10:11], v[80:81] neg_lo:[1,0,0] neg_hi:[1,0,0]
	v_pk_fma_f32 v[148:149], v[60:61], s[36:37], v[78:79]
	v_mov_b32_e32 v126, v104
	v_pk_add_f32 v[126:127], v[26:27], v[126:127]
	v_mov_b32_e32 v150, v148
	v_pk_add_f32 v[126:127], v[150:151], v[126:127]
	v_pk_fma_f32 v[150:151], v[62:63], s[22:23], v[76:77]
	v_pk_fma_f32 v[10:11], v[58:59], s[22:23], v[10:11] neg_lo:[0,0,1] neg_hi:[0,0,1]
	v_mov_b32_e32 v152, v150
	v_pk_add_f32 v[126:127], v[152:153], v[126:127]
	v_pk_fma_f32 v[152:153], v[64:65], s[2:3], v[74:75]
	v_pk_fma_f32 v[42:43], v[58:59], s[24:25], v[42:43] neg_lo:[0,0,1] neg_hi:[0,0,1]
	v_mov_b32_e32 v154, v152
	v_pk_add_f32 v[126:127], v[154:155], v[126:127]
	v_pk_fma_f32 v[154:155], v[66:67], s[20:21], v[72:73]
	v_mov_b32_e32 v11, v9
	v_mov_b32_e32 v156, v154
	v_pk_add_f32 v[126:127], v[156:157], v[126:127]
	v_pk_mul_f32 v[156:157], v[58:59], s[2:3]
	v_mov_b32_e32 v43, v101
	v_pk_add_f32 v[70:71], v[70:71], v[156:157] neg_lo:[0,1] neg_hi:[0,1]
	v_pk_add_f32 v[8:9], v[26:27], v[10:11]
	v_mov_b32_e32 v69, v71
	v_pk_mul_f32 v[70:71], v[60:61], s[14:15]
	v_pk_add_f32 v[68:69], v[26:27], v[68:69]
	v_pk_add_f32 v[70:71], v[84:85], v[70:71] neg_lo:[0,1] neg_hi:[0,1]
	v_pk_fma_f32 v[10:11], v[60:61], s[24:25], v[24:25] neg_lo:[0,0,1] neg_hi:[0,0,1]
	v_mov_b32_e32 v83, v71
	v_pk_mul_f32 v[70:71], v[62:63], s[10:11]
	v_pk_add_f32 v[68:69], v[82:83], v[68:69]
	v_pk_add_f32 v[70:71], v[88:89], v[70:71] neg_lo:[0,1] neg_hi:[0,1]
	v_pk_mul_f32 v[82:83], v[64:65], s[20:21]
	v_mov_b32_e32 v87, v71
	v_pk_mul_f32 v[70:71], v[66:67], s[18:19]
	v_pk_add_f32 v[82:83], v[90:91], v[82:83] neg_lo:[0,1] neg_hi:[0,1]
	v_pk_add_f32 v[68:69], v[86:87], v[68:69]
	v_mov_b32_e32 v93, v83
	v_pk_add_f32 v[70:71], v[94:95], v[70:71] neg_lo:[0,1] neg_hi:[0,1]
	v_pk_add_f32 v[68:69], v[92:93], v[68:69]
	v_mov_b32_e32 v97, v71
	v_pk_add_f32 v[68:69], v[96:97], v[68:69]
	ds_write2_b64 v137, v[126:127], v[68:69] offset0:4 offset1:5
	v_pk_fma_f32 v[68:69], v[58:59], s[10:11], v[80:81] neg_lo:[0,0,1] neg_hi:[0,0,1]
	v_pk_fma_f32 v[70:71], v[60:61], s[36:37], v[78:79] neg_lo:[0,0,1] neg_hi:[0,0,1]
	v_mov_b32_e32 v69, v105
	v_pk_add_f32 v[68:69], v[26:27], v[68:69]
	v_mov_b32_e32 v71, v149
	v_pk_add_f32 v[68:69], v[70:71], v[68:69]
	v_pk_fma_f32 v[70:71], v[62:63], s[22:23], v[76:77] neg_lo:[0,0,1] neg_hi:[0,0,1]
	v_pk_add_f32 v[42:43], v[26:27], v[42:43]
	v_mov_b32_e32 v71, v151
	v_pk_add_f32 v[68:69], v[70:71], v[68:69]
	v_pk_fma_f32 v[70:71], v[64:65], s[2:3], v[74:75] neg_lo:[0,0,1] neg_hi:[0,0,1]
	v_mov_b32_e32 v11, v23
	v_mov_b32_e32 v71, v153
	v_pk_add_f32 v[68:69], v[70:71], v[68:69]
	v_pk_fma_f32 v[70:71], v[66:67], s[20:21], v[72:73] neg_lo:[0,0,1] neg_hi:[0,0,1]
	v_pk_add_f32 v[8:9], v[10:11], v[8:9]
	v_mov_b32_e32 v71, v155
	v_pk_add_f32 v[68:69], v[70:71], v[68:69]
	ds_write2_b64 v137, v[46:47], v[68:69] offset0:6 offset1:7
	v_pk_fma_f32 v[68:69], v[58:59], s[18:19], v[122:123] neg_lo:[0,0,1] neg_hi:[0,0,1]
	v_pk_fma_f32 v[70:71], v[60:61], s[30:31], v[128:129] neg_lo:[0,0,1] neg_hi:[0,0,1]
	v_mov_b32_e32 v69, v125
	v_pk_add_f32 v[68:69], v[26:27], v[68:69]
	v_mov_b32_e32 v71, v131
	v_pk_add_f32 v[68:69], v[70:71], v[68:69]
	v_pk_fma_f32 v[70:71], v[62:63], s[20:21], v[132:133] neg_lo:[0,0,1] neg_hi:[0,0,1]
	v_pk_fma_f32 v[10:11], v[62:63], s[18:19], v[30:31] neg_lo:[0,0,1] neg_hi:[0,0,1]
	v_mov_b32_e32 v71, v139
	v_pk_add_f32 v[68:69], v[70:71], v[68:69]
	v_pk_fma_f32 v[70:71], v[64:65], s[22:23], v[140:141] neg_lo:[0,0,1] neg_hi:[0,0,1]
	v_mov_b32_e32 v11, v29
	v_mov_b32_e32 v71, v143
	v_pk_add_f32 v[68:69], v[70:71], v[68:69]
	v_pk_fma_f32 v[70:71], v[66:67], s[10:11], v[144:145] neg_lo:[0,0,1] neg_hi:[0,0,1]
	v_pk_add_f32 v[8:9], v[10:11], v[8:9]
	v_mov_b32_e32 v71, v147
	v_pk_add_f32 v[68:69], v[70:71], v[68:69]
	v_pk_fma_f32 v[70:71], v[60:61], s[10:11], v[106:107] neg_lo:[0,0,1] neg_hi:[0,0,1]
	v_pk_fma_f32 v[10:11], v[64:65], s[10:11], v[34:35] neg_lo:[0,0,1] neg_hi:[0,0,1]
	v_mov_b32_e32 v71, v109
	v_pk_add_f32 v[42:43], v[70:71], v[42:43]
	v_pk_fma_f32 v[70:71], v[62:63], s[30:31], v[110:111] neg_lo:[0,0,1] neg_hi:[0,0,1]
	v_mov_b32_e32 v11, v33
	v_mov_b32_e32 v71, v113
	v_pk_add_f32 v[42:43], v[70:71], v[42:43]
	v_pk_fma_f32 v[70:71], v[64:65], s[36:37], v[114:115] neg_lo:[0,0,1] neg_hi:[0,0,1]
	v_pk_add_f32 v[8:9], v[10:11], v[8:9]
	v_mov_b32_e32 v71, v117
	v_pk_add_f32 v[42:43], v[70:71], v[42:43]
	v_pk_fma_f32 v[70:71], v[66:67], s[14:15], v[118:119] neg_lo:[0,0,1] neg_hi:[0,0,1]
	v_pk_fma_f32 v[10:11], v[66:67], s[2:3], v[102:103] neg_lo:[0,0,1] neg_hi:[0,0,1]
	v_mov_b32_e32 v71, v121
	v_mov_b32_e32 v11, v37
	v_pk_add_f32 v[42:43], v[70:71], v[42:43]
	v_pk_add_f32 v[8:9], v[10:11], v[8:9]
	ds_write2_b64 v137, v[68:69], v[42:43] offset0:8 offset1:9
	ds_write_b64 v137, v[8:9] offset:80
.LBB0_17:
	s_or_b64 exec, exec, s[16:17]
	s_waitcnt lgkmcnt(0)
	s_barrier
	ds_read2_b64 v[8:11], v98 offset1:77
	ds_read2_b64 v[24:27], v98 offset0:154 offset1:231
	v_add_u32_e32 v22, 0x800, v98
	ds_read2_b64 v[28:31], v22 offset0:52 offset1:129
	s_mov_b32 s10, 0x3f5db3d7
	s_waitcnt lgkmcnt(2)
	v_pk_mul_f32 v[4:5], v[4:5], v[10:11]
	s_waitcnt lgkmcnt(1)
	v_pk_mul_f32 v[6:7], v[6:7], v[24:25]
	v_pk_fma_f32 v[32:33], v[56:57], v[10:11], v[4:5] op_sel:[0,0,1] op_sel_hi:[1,1,0]
	v_pk_fma_f32 v[4:5], v[56:57], v[10:11], v[4:5] op_sel:[0,0,1] op_sel_hi:[1,1,0] neg_lo:[0,0,1] neg_hi:[0,0,1]
	v_pk_fma_f32 v[10:11], v[54:55], v[24:25], v[6:7] op_sel:[0,0,1] op_sel_hi:[1,1,0]
	v_pk_fma_f32 v[6:7], v[54:55], v[24:25], v[6:7] op_sel:[0,0,1] op_sel_hi:[1,1,0] neg_lo:[0,0,1] neg_hi:[0,0,1]
	v_pk_mul_f32 v[0:1], v[0:1], v[26:27]
	v_mov_b32_e32 v11, v7
	v_pk_fma_f32 v[6:7], v[52:53], v[26:27], v[0:1] op_sel:[0,0,1] op_sel_hi:[1,1,0]
	v_pk_fma_f32 v[0:1], v[52:53], v[26:27], v[0:1] op_sel:[0,0,1] op_sel_hi:[1,1,0] neg_lo:[0,0,1] neg_hi:[0,0,1]
	v_mov_b32_e32 v33, v5
	v_mov_b32_e32 v7, v1
	s_waitcnt lgkmcnt(0)
	v_pk_mul_f32 v[0:1], v[2:3], v[28:29]
	v_mov_b32_e32 v4, v32
	v_pk_fma_f32 v[2:3], v[50:51], v[28:29], v[0:1] op_sel:[0,0,1] op_sel_hi:[1,1,0]
	v_pk_fma_f32 v[0:1], v[50:51], v[28:29], v[0:1] op_sel:[0,0,1] op_sel_hi:[1,1,0] neg_lo:[0,0,1] neg_hi:[0,0,1]
	s_mov_b32 s14, 0.5
	v_mov_b32_e32 v3, v1
	v_pk_mul_f32 v[0:1], v[40:41], v[30:31]
	s_mov_b32 s15, s10
	v_pk_fma_f32 v[24:25], v[48:49], v[30:31], v[0:1] op_sel:[0,0,1] op_sel_hi:[1,1,0]
	v_pk_fma_f32 v[0:1], v[48:49], v[30:31], v[0:1] op_sel:[0,0,1] op_sel_hi:[1,1,0] neg_lo:[0,0,1] neg_hi:[0,0,1]
	s_mov_b32 s2, -0.5
	v_mov_b32_e32 v25, v1
	v_pk_add_f32 v[0:1], v[8:9], v[10:11]
	v_pk_add_f32 v[28:29], v[6:7], v[24:25] neg_lo:[0,1] neg_hi:[0,1]
	v_pk_add_f32 v[26:27], v[0:1], v[2:3]
	v_pk_add_f32 v[0:1], v[6:7], v[24:25]
	v_pk_add_f32 v[6:7], v[32:33], v[6:7]
	v_fmac_f32_e32 v4, -0.5, v0
	v_pk_add_f32 v[6:7], v[6:7], v[24:25]
	v_fmac_f32_e32 v5, -0.5, v1
	v_pk_add_f32 v[0:1], v[26:27], v[6:7]
	v_pk_add_f32 v[6:7], v[26:27], v[6:7] neg_lo:[0,1] neg_hi:[0,1]
	v_pk_add_f32 v[26:27], v[10:11], v[2:3]
	v_pk_add_f32 v[2:3], v[10:11], v[2:3] neg_lo:[0,1] neg_hi:[0,1]
	v_fmamk_f32 v24, v28, 0x3f5db3d7, v5
	v_pk_fma_f32 v[8:9], -0.5, v[26:27], v[8:9] op_sel_hi:[0,1,1]
	v_pk_mul_f32 v[2:3], v[2:3], s[10:11] op_sel_hi:[1,0]
	s_mov_b32 s11, s14
	v_fmamk_f32 v30, v29, 0xbf5db3d7, v4
	v_fmac_f32_e32 v5, 0xbf5db3d7, v28
	v_pk_add_f32 v[10:11], v[8:9], v[2:3] op_sel:[0,1] op_sel_hi:[1,0]
	v_pk_add_f32 v[8:9], v[8:9], v[2:3] op_sel:[0,1] op_sel_hi:[1,0] neg_lo:[0,1] neg_hi:[0,1]
	v_pk_mul_f32 v[2:3], v[24:25], s[10:11] op_sel_hi:[0,1]
	v_fmac_f32_e32 v4, 0x3f5db3d7, v29
	v_mov_b32_e32 v26, v8
	v_pk_fma_f32 v[24:25], v[30:31], s[14:15], v[2:3] op_sel_hi:[0,1,1]
	v_pk_fma_f32 v[28:29], v[30:31], s[14:15], v[2:3] op_sel_hi:[0,1,1] neg_lo:[0,0,1] neg_hi:[0,0,1]
	v_mov_b32_e32 v8, v5
	v_mov_b32_e32 v29, v25
	s_mov_b32 s3, s10
	v_pk_mul_f32 v[24:25], v[8:9], s[10:11] op_sel_hi:[0,1]
	v_mov_b32_e32 v27, v11
	v_pk_fma_f32 v[24:25], v[4:5], s[2:3], v[24:25] op_sel_hi:[0,1,1] neg_lo:[0,0,1] neg_hi:[0,0,1]
	v_mov_b32_e32 v11, v9
	v_pk_add_f32 v[2:3], v[26:27], v[28:29]
	v_pk_add_f32 v[4:5], v[10:11], v[24:25]
	v_pk_add_f32 v[8:9], v[26:27], v[28:29] neg_lo:[0,1] neg_hi:[0,1]
	v_pk_add_f32 v[10:11], v[10:11], v[24:25] neg_lo:[0,1] neg_hi:[0,1]
	s_barrier
	ds_write2_b64 v99, v[0:1], v[2:3] offset1:11
	ds_write2_b64 v99, v[4:5], v[6:7] offset0:22 offset1:33
	ds_write2_b64 v99, v[8:9], v[10:11] offset0:44 offset1:55
	s_waitcnt lgkmcnt(0)
	s_barrier
	s_and_saveexec_b64 s[2:3], s[0:1]
	s_cbranch_execz .LBB0_19
; %bb.18:
	ds_read2_b64 v[0:3], v98 offset1:66
	ds_read2_b64 v[4:7], v98 offset0:132 offset1:198
	ds_read2_b64 v[8:11], v22 offset0:8 offset1:74
	ds_read_b64 v[46:47], v98 offset:3168
.LBB0_19:
	s_or_b64 exec, exec, s[2:3]
	s_and_saveexec_b64 s[2:3], s[0:1]
	s_cbranch_execz .LBB0_21
; %bb.20:
	v_mov_b32_e32 v24, v21
	v_mov_b32_e32 v25, v20
	s_waitcnt lgkmcnt(2)
	v_pk_mul_f32 v[40:41], v[24:25], v[6:7]
	v_mov_b32_e32 v32, v7
	v_mov_b32_e32 v40, v41
	v_pk_mul_f32 v[20:21], v[20:21], v[6:7]
	v_pk_mul_f32 v[32:33], v[24:25], v[32:33]
	v_pk_fma_f32 v[6:7], v[24:25], v[6:7], v[40:41] neg_lo:[1,0,0] neg_hi:[1,0,0]
	s_waitcnt lgkmcnt(1)
	v_pk_mul_f32 v[24:25], v[44:45], v[8:9]
	v_mov_b32_e32 v22, v45
	v_mov_b32_e32 v23, v44
	s_waitcnt lgkmcnt(0)
	v_pk_mul_f32 v[28:29], v[18:19], v[46:47] op_sel_hi:[1,0]
	v_mov_b32_e32 v24, v25
	v_pk_mul_f32 v[26:27], v[12:13], v[2:3] op_sel_hi:[1,0]
	v_pk_mul_f32 v[22:23], v[22:23], v[8:9]
	v_mov_b32_e32 v30, v9
	v_pk_fma_f32 v[8:9], v[44:45], v[8:9], v[24:25] neg_lo:[1,0,0] neg_hi:[1,0,0]
	v_pk_fma_f32 v[24:25], v[18:19], v[46:47], v[28:29] op_sel:[0,1,1] op_sel_hi:[1,1,0] neg_lo:[0,0,1] neg_hi:[0,0,1]
	v_pk_fma_f32 v[18:19], v[18:19], v[46:47], v[28:29] op_sel:[0,1,1] op_sel_hi:[1,1,0]
	v_pk_mul_f32 v[36:37], v[16:17], v[10:11] op_sel_hi:[1,0]
	v_mov_b32_e32 v25, v19
	v_pk_fma_f32 v[18:19], v[12:13], v[2:3], v[26:27] op_sel:[0,1,1] op_sel_hi:[1,1,0] neg_lo:[0,0,1] neg_hi:[0,0,1]
	v_pk_fma_f32 v[2:3], v[12:13], v[2:3], v[26:27] op_sel:[0,1,1] op_sel_hi:[1,1,0]
	v_pk_mul_f32 v[34:35], v[14:15], v[4:5] op_sel_hi:[1,0]
	v_mov_b32_e32 v19, v3
	v_pk_fma_f32 v[2:3], v[16:17], v[10:11], v[36:37] op_sel:[0,1,1] op_sel_hi:[1,1,0] neg_lo:[0,0,1] neg_hi:[0,0,1]
	v_pk_fma_f32 v[10:11], v[16:17], v[10:11], v[36:37] op_sel:[0,1,1] op_sel_hi:[1,1,0]
	v_pk_mul_f32 v[30:31], v[44:45], v[30:31]
	v_mov_b32_e32 v3, v11
	v_pk_fma_f32 v[10:11], v[14:15], v[4:5], v[34:35] op_sel:[0,1,1] op_sel_hi:[1,1,0] neg_lo:[0,0,1] neg_hi:[0,0,1]
	v_pk_fma_f32 v[4:5], v[14:15], v[4:5], v[34:35] op_sel:[0,1,1] op_sel_hi:[1,1,0]
	v_mov_b32_e32 v21, v24
	v_mov_b32_e32 v11, v5
	;; [unrolled: 1-line block ×5, first 2 shown]
	v_pk_add_f32 v[4:5], v[24:25], v[18:19]
	v_pk_add_f32 v[12:13], v[2:3], v[10:11]
	v_pk_add_f32 v[14:15], v[18:19], v[24:25] neg_lo:[0,1] neg_hi:[0,1]
	v_pk_add_f32 v[16:17], v[10:11], v[2:3] neg_lo:[0,1] neg_hi:[0,1]
	v_pk_add_f32 v[18:19], v[20:21], v[32:33]
	v_pk_add_f32 v[2:3], v[22:23], v[30:31]
	v_mov_b32_e32 v7, v18
	v_mov_b32_e32 v9, v2
	v_pk_add_f32 v[10:11], v[8:9], v[6:7] neg_lo:[0,1] neg_hi:[0,1]
	s_mov_b32 s0, 0xbeae86e6
	v_mov_b32_e32 v22, v10
	s_mov_b32 s1, 0x3f08b237
	v_pk_add_f32 v[24:25], v[10:11], v[16:17]
	v_mov_b32_e32 v26, v10
	v_mov_b32_e32 v27, v15
	;; [unrolled: 1-line block ×6, first 2 shown]
	v_pk_add_f32 v[10:11], v[26:27], v[10:11] neg_lo:[0,1] neg_hi:[0,1]
	s_mov_b32 s14, s1
	s_mov_b32 s15, s0
	v_mov_b32_e32 v26, v13
	v_mov_b32_e32 v27, v8
	;; [unrolled: 1-line block ×4, first 2 shown]
	v_pk_add_f32 v[20:21], v[20:21], v[22:23] neg_lo:[0,1] neg_hi:[0,1]
	v_pk_mul_f32 v[10:11], v[10:11], s[14:15]
	v_pk_add_f32 v[6:7], v[26:27], v[8:9]
	v_pk_add_f32 v[8:9], v[2:3], v[18:19]
	v_pk_mul_f32 v[22:23], v[20:21], s[0:1]
	v_pk_fma_f32 v[20:21], v[20:21], s[0:1], v[10:11]
	v_pk_add_f32 v[26:27], v[6:7], v[8:9]
	v_mov_b32_e32 v6, v5
	v_mov_b32_e32 v9, v3
	s_mov_b32 s0, 0x3f4a47b2
	v_pk_add_f32 v[28:29], v[6:7], v[8:9] neg_lo:[0,1] neg_hi:[0,1]
	s_mov_b32 s1, 0x3d64c772
	v_mov_b32_e32 v9, v19
	v_mov_b32_e32 v6, v13
	v_pk_add_f32 v[6:7], v[8:9], v[6:7] neg_lo:[0,1] neg_hi:[0,1]
	s_mov_b32 s14, s1
	s_mov_b32 s15, s0
	v_pk_mul_f32 v[6:7], v[6:7], s[14:15]
	v_pk_add_f32 v[0:1], v[0:1], v[26:27]
	v_pk_mul_f32 v[30:31], v[28:29], s[0:1]
	v_pk_fma_f32 v[8:9], v[28:29], s[0:1], v[6:7]
	s_mov_b32 s0, 0xbf955555
	v_pk_add_f32 v[24:25], v[24:25], v[14:15]
	s_mov_b32 s10, 0xbee1c552
	v_pk_fma_f32 v[26:27], v[26:27], s[0:1], v[0:1] op_sel_hi:[1,0,1]
	v_pk_fma_f32 v[20:21], v[24:25], s[10:11], v[20:21] op_sel_hi:[1,0,1]
	v_pk_add_f32 v[8:9], v[8:9], v[26:27]
	v_lshl_add_u32 v40, v136, 3, v39
	v_pk_add_f32 v[28:29], v[8:9], v[20:21]
	v_pk_add_f32 v[8:9], v[8:9], v[20:21] neg_lo:[0,1] neg_hi:[0,1]
	v_mov_b32_e32 v20, v28
	v_mov_b32_e32 v21, v9
	;; [unrolled: 1-line block ×4, first 2 shown]
	ds_write2_b64 v40, v[0:1], v[20:21] offset1:66
	v_pk_add_f32 v[0:1], v[16:17], v[14:15] neg_lo:[0,1] neg_hi:[0,1]
	s_mov_b32 s0, 0xbf5ff5aa
	v_mov_b32_e32 v14, v22
	v_mov_b32_e32 v15, v11
	v_pk_add_f32 v[2:3], v[2:3], v[18:19] neg_lo:[0,1] neg_hi:[0,1]
	s_mov_b32 s14, 0x3f3bfb3b
	v_mov_b32_e32 v4, v30
	v_mov_b32_e32 v5, v7
	;; [unrolled: 1-line block ×4, first 2 shown]
	v_pk_fma_f32 v[14:15], v[0:1], s[0:1], v[14:15] op_sel_hi:[1,0,1] neg_lo:[1,0,1] neg_hi:[1,0,1]
	v_pk_fma_f32 v[4:5], v[2:3], s[14:15], v[4:5] op_sel_hi:[1,0,1] neg_lo:[1,0,1] neg_hi:[1,0,1]
	;; [unrolled: 1-line block ×4, first 2 shown]
	v_pk_fma_f32 v[14:15], v[24:25], s[10:11], v[14:15] op_sel_hi:[1,0,1]
	v_pk_add_f32 v[4:5], v[4:5], v[26:27]
	v_pk_fma_f32 v[0:1], v[24:25], s[10:11], v[0:1] op_sel_hi:[1,0,1]
	v_pk_add_f32 v[2:3], v[2:3], v[26:27]
	v_pk_add_f32 v[12:13], v[4:5], v[14:15]
	v_pk_add_f32 v[4:5], v[4:5], v[14:15] neg_lo:[0,1] neg_hi:[0,1]
	v_pk_add_f32 v[6:7], v[2:3], v[0:1] neg_lo:[0,1] neg_hi:[0,1]
	v_pk_add_f32 v[0:1], v[2:3], v[0:1]
	v_mov_b32_e32 v14, v12
	v_mov_b32_e32 v15, v5
	;; [unrolled: 1-line block ×4, first 2 shown]
	ds_write2_b64 v40, v[14:15], v[2:3] offset0:132 offset1:198
	v_mov_b32_e32 v1, v7
	v_mov_b32_e32 v5, v13
	v_add_u32_e32 v2, 0x800, v40
	v_mov_b32_e32 v9, v29
	ds_write2_b64 v2, v[0:1], v[4:5] offset0:8 offset1:74
	ds_write_b64 v40, v[8:9] offset:3168
.LBB0_21:
	s_or_b64 exec, exec, s[2:3]
	s_waitcnt lgkmcnt(0)
	s_barrier
	s_and_b64 exec, exec, vcc
	s_cbranch_execz .LBB0_23
; %bb.22:
	global_load_dwordx2 v[8:9], v39, s[8:9]
	global_load_dwordx2 v[10:11], v39, s[8:9] offset:336
	global_load_dwordx2 v[12:13], v39, s[8:9] offset:672
	;; [unrolled: 1-line block ×7, first 2 shown]
	v_lshl_add_u32 v0, v134, 3, v135
	v_add_u32_e32 v36, v135, v39
	ds_read_b64 v[32:33], v0
	ds_read2_b64 v[0:3], v36 offset0:42 offset1:84
	ds_read2_b64 v[4:7], v36 offset0:126 offset1:168
	v_mad_u64_u32 v[18:19], s[0:1], s6, v38, 0
	v_mad_u64_u32 v[22:23], s[2:3], s4, v134, 0
	v_mov_b32_e32 v30, v19
	v_mov_b32_e32 v34, v23
	v_mad_u64_u32 v[30:31], s[6:7], s7, v38, v[30:31]
	v_mad_u64_u32 v[34:35], s[6:7], s5, v134, v[34:35]
	v_mov_b32_e32 v23, v34
	s_mov_b32 s0, 0x4046ed29
	s_mov_b32 s1, 0x3f61bb4a
	v_mov_b32_e32 v16, s12
	v_mov_b32_e32 v17, s13
	;; [unrolled: 1-line block ×3, first 2 shown]
	v_lshl_add_u64 v[16:17], v[18:19], 3, v[16:17]
	v_lshl_add_u64 v[16:17], v[22:23], 3, v[16:17]
	v_mov_b32_e32 v37, 0x150
	s_mul_i32 s2, s5, 0x150
	v_mad_u64_u32 v[18:19], s[6:7], s4, v37, v[16:17]
	v_add_u32_e32 v19, s2, v19
	v_mad_u64_u32 v[22:23], s[6:7], s4, v37, v[18:19]
	v_add_u32_e32 v23, s2, v23
	;; [unrolled: 2-line block ×3, first 2 shown]
	s_waitcnt vmcnt(7) lgkmcnt(2)
	v_mul_f32_e32 v34, v33, v9
	s_waitcnt vmcnt(6) lgkmcnt(1)
	v_mul_f32_e32 v35, v1, v11
	v_mul_f32_e32 v9, v32, v9
	;; [unrolled: 1-line block ×3, first 2 shown]
	s_waitcnt vmcnt(4) lgkmcnt(0)
	v_mul_f32_e32 v40, v5, v15
	v_mul_f32_e32 v15, v4, v15
	v_fmac_f32_e32 v34, v32, v8
	v_fmac_f32_e32 v35, v0, v10
	v_fma_f32 v8, v8, v33, -v9
	v_fma_f32 v9, v10, v1, -v11
	v_fmac_f32_e32 v40, v4, v14
	v_fma_f32 v32, v14, v5, -v15
	v_cvt_f64_f32_e32 v[0:1], v34
	v_cvt_f64_f32_e32 v[4:5], v35
	global_load_dwordx2 v[34:35], v39, s[8:9] offset:2688
	v_mul_f32_e32 v38, v3, v13
	v_mul_f32_e32 v13, v2, v13
	v_fmac_f32_e32 v38, v2, v12
	v_fma_f32 v12, v12, v3, -v13
	v_cvt_f64_f32_e32 v[2:3], v8
	v_cvt_f64_f32_e32 v[10:11], v38
	v_mul_f64 v[0:1], v[0:1], s[0:1]
	v_mul_f64 v[2:3], v[2:3], s[0:1]
	;; [unrolled: 1-line block ×4, first 2 shown]
	v_cvt_f32_f64_e32 v0, v[0:1]
	v_cvt_f32_f64_e32 v1, v[2:3]
	v_cvt_f32_f64_e32 v2, v[4:5]
	v_cvt_f32_f64_e32 v4, v[10:11]
	global_load_dwordx2 v[10:11], v39, s[8:9] offset:3024
	v_cvt_f64_f32_e32 v[8:9], v9
	global_store_dwordx2 v[16:17], v[0:1], off
	s_waitcnt vmcnt(6)
	v_mul_f32_e32 v0, v7, v21
	v_fmac_f32_e32 v0, v6, v20
	v_cvt_f64_f32_e32 v[12:13], v12
	v_mul_f64 v[8:9], v[8:9], s[0:1]
	v_cvt_f64_f32_e32 v[0:1], v0
	v_mul_f64 v[12:13], v[12:13], s[0:1]
	v_cvt_f32_f64_e32 v3, v[8:9]
	v_mul_f64 v[0:1], v[0:1], s[0:1]
	v_cvt_f32_f64_e32 v5, v[12:13]
	global_store_dwordx2 v[18:19], v[2:3], off
	global_store_dwordx2 v[22:23], v[4:5], off
	v_cvt_f32_f64_e32 v4, v[0:1]
	v_mul_f32_e32 v0, v6, v21
	v_fma_f32 v0, v20, v7, -v0
	global_load_dwordx2 v[6:7], v39, s[8:9] offset:3360
	v_cvt_f64_f32_e32 v[0:1], v0
	v_mul_f64 v[0:1], v[0:1], s[0:1]
	v_cvt_f64_f32_e32 v[14:15], v40
	v_cvt_f64_f32_e32 v[32:33], v32
	v_cvt_f32_f64_e32 v5, v[0:1]
	ds_read2_b64 v[0:3], v36 offset0:210 offset1:252
	v_mul_f64 v[14:15], v[14:15], s[0:1]
	v_mul_f64 v[32:33], v[32:33], s[0:1]
	v_cvt_f32_f64_e32 v8, v[14:15]
	v_cvt_f32_f64_e32 v9, v[32:33]
	global_store_dwordx2 v[30:31], v[8:9], off
	v_mad_u64_u32 v[8:9], s[6:7], s4, v37, v[30:31]
	v_add_u32_e32 v9, s2, v9
	global_store_dwordx2 v[8:9], v[4:5], off
	s_waitcnt vmcnt(10) lgkmcnt(0)
	v_mul_f32_e32 v4, v1, v25
	v_fmac_f32_e32 v4, v0, v24
	v_mul_f32_e32 v0, v0, v25
	v_fma_f32 v0, v24, v1, -v0
	v_cvt_f64_f32_e32 v[4:5], v4
	v_cvt_f64_f32_e32 v[0:1], v0
	v_mul_f64 v[4:5], v[4:5], s[0:1]
	v_mul_f64 v[0:1], v[0:1], s[0:1]
	v_cvt_f32_f64_e32 v4, v[4:5]
	v_cvt_f32_f64_e32 v5, v[0:1]
	s_waitcnt vmcnt(9)
	v_mul_f32_e32 v0, v3, v27
	v_fmac_f32_e32 v0, v2, v26
	v_mad_u64_u32 v[8:9], s[6:7], s4, v37, v[8:9]
	v_cvt_f64_f32_e32 v[0:1], v0
	v_add_u32_e32 v9, s2, v9
	v_mul_f64 v[0:1], v[0:1], s[0:1]
	global_store_dwordx2 v[8:9], v[4:5], off
	v_cvt_f32_f64_e32 v4, v[0:1]
	v_mul_f32_e32 v0, v2, v27
	v_fma_f32 v0, v26, v3, -v0
	v_cvt_f64_f32_e32 v[0:1], v0
	v_mul_f64 v[0:1], v[0:1], s[0:1]
	v_add_u32_e32 v12, 0x800, v36
	v_cvt_f32_f64_e32 v5, v[0:1]
	ds_read2_b64 v[0:3], v12 offset0:38 offset1:80
	v_mad_u64_u32 v[8:9], s[6:7], s4, v37, v[8:9]
	v_add_u32_e32 v9, s2, v9
	global_store_dwordx2 v[8:9], v[4:5], off
	s_waitcnt vmcnt(10) lgkmcnt(0)
	v_mul_f32_e32 v4, v1, v29
	v_fmac_f32_e32 v4, v0, v28
	v_mul_f32_e32 v0, v0, v29
	v_fma_f32 v0, v28, v1, -v0
	v_cvt_f64_f32_e32 v[4:5], v4
	v_cvt_f64_f32_e32 v[0:1], v0
	v_mul_f64 v[4:5], v[4:5], s[0:1]
	v_mul_f64 v[0:1], v[0:1], s[0:1]
	v_cvt_f32_f64_e32 v4, v[4:5]
	v_cvt_f32_f64_e32 v5, v[0:1]
	s_waitcnt vmcnt(9)
	v_mul_f32_e32 v0, v3, v35
	v_fmac_f32_e32 v0, v2, v34
	v_mad_u64_u32 v[8:9], s[6:7], s4, v37, v[8:9]
	v_cvt_f64_f32_e32 v[0:1], v0
	v_add_u32_e32 v9, s2, v9
	v_mul_f64 v[0:1], v[0:1], s[0:1]
	global_store_dwordx2 v[8:9], v[4:5], off
	v_cvt_f32_f64_e32 v4, v[0:1]
	v_mul_f32_e32 v0, v2, v35
	v_fma_f32 v0, v34, v3, -v0
	v_cvt_f64_f32_e32 v[0:1], v0
	v_mul_f64 v[0:1], v[0:1], s[0:1]
	v_cvt_f32_f64_e32 v5, v[0:1]
	ds_read2_b64 v[0:3], v12 offset0:122 offset1:164
	v_mad_u64_u32 v[8:9], s[6:7], s4, v37, v[8:9]
	v_add_u32_e32 v9, s2, v9
	global_store_dwordx2 v[8:9], v[4:5], off
	s_waitcnt vmcnt(10) lgkmcnt(0)
	v_mul_f32_e32 v4, v1, v11
	v_fmac_f32_e32 v4, v0, v10
	v_mul_f32_e32 v0, v0, v11
	v_fma_f32 v0, v10, v1, -v0
	v_cvt_f64_f32_e32 v[4:5], v4
	v_cvt_f64_f32_e32 v[0:1], v0
	v_mul_f64 v[4:5], v[4:5], s[0:1]
	v_mul_f64 v[0:1], v[0:1], s[0:1]
	v_cvt_f32_f64_e32 v4, v[4:5]
	v_cvt_f32_f64_e32 v5, v[0:1]
	v_mad_u64_u32 v[0:1], s[6:7], s4, v37, v[8:9]
	v_add_u32_e32 v1, s2, v1
	global_store_dwordx2 v[0:1], v[4:5], off
	s_waitcnt vmcnt(7)
	v_mul_f32_e32 v4, v3, v7
	v_fmac_f32_e32 v4, v2, v6
	v_mul_f32_e32 v2, v2, v7
	v_fma_f32 v2, v6, v3, -v2
	v_cvt_f64_f32_e32 v[4:5], v4
	v_cvt_f64_f32_e32 v[2:3], v2
	v_mul_f64 v[4:5], v[4:5], s[0:1]
	v_mul_f64 v[2:3], v[2:3], s[0:1]
	v_mad_u64_u32 v[0:1], s[0:1], s4, v37, v[0:1]
	v_cvt_f32_f64_e32 v4, v[4:5]
	v_cvt_f32_f64_e32 v5, v[2:3]
	v_add_u32_e32 v1, s2, v1
	global_store_dwordx2 v[0:1], v[4:5], off
.LBB0_23:
	s_endpgm
	.section	.rodata,"a",@progbits
	.p2align	6, 0x0
	.amdhsa_kernel bluestein_single_back_len462_dim1_sp_op_CI_CI
		.amdhsa_group_segment_fixed_size 11088
		.amdhsa_private_segment_fixed_size 0
		.amdhsa_kernarg_size 104
		.amdhsa_user_sgpr_count 2
		.amdhsa_user_sgpr_dispatch_ptr 0
		.amdhsa_user_sgpr_queue_ptr 0
		.amdhsa_user_sgpr_kernarg_segment_ptr 1
		.amdhsa_user_sgpr_dispatch_id 0
		.amdhsa_user_sgpr_kernarg_preload_length 0
		.amdhsa_user_sgpr_kernarg_preload_offset 0
		.amdhsa_user_sgpr_private_segment_size 0
		.amdhsa_uses_dynamic_stack 0
		.amdhsa_enable_private_segment 0
		.amdhsa_system_sgpr_workgroup_id_x 1
		.amdhsa_system_sgpr_workgroup_id_y 0
		.amdhsa_system_sgpr_workgroup_id_z 0
		.amdhsa_system_sgpr_workgroup_info 0
		.amdhsa_system_vgpr_workitem_id 0
		.amdhsa_next_free_vgpr 158
		.amdhsa_next_free_sgpr 48
		.amdhsa_accum_offset 160
		.amdhsa_reserve_vcc 1
		.amdhsa_float_round_mode_32 0
		.amdhsa_float_round_mode_16_64 0
		.amdhsa_float_denorm_mode_32 3
		.amdhsa_float_denorm_mode_16_64 3
		.amdhsa_dx10_clamp 1
		.amdhsa_ieee_mode 1
		.amdhsa_fp16_overflow 0
		.amdhsa_tg_split 0
		.amdhsa_exception_fp_ieee_invalid_op 0
		.amdhsa_exception_fp_denorm_src 0
		.amdhsa_exception_fp_ieee_div_zero 0
		.amdhsa_exception_fp_ieee_overflow 0
		.amdhsa_exception_fp_ieee_underflow 0
		.amdhsa_exception_fp_ieee_inexact 0
		.amdhsa_exception_int_div_zero 0
	.end_amdhsa_kernel
	.text
.Lfunc_end0:
	.size	bluestein_single_back_len462_dim1_sp_op_CI_CI, .Lfunc_end0-bluestein_single_back_len462_dim1_sp_op_CI_CI
                                        ; -- End function
	.section	.AMDGPU.csdata,"",@progbits
; Kernel info:
; codeLenInByte = 9488
; NumSgprs: 54
; NumVgprs: 158
; NumAgprs: 0
; TotalNumVgprs: 158
; ScratchSize: 0
; MemoryBound: 0
; FloatMode: 240
; IeeeMode: 1
; LDSByteSize: 11088 bytes/workgroup (compile time only)
; SGPRBlocks: 6
; VGPRBlocks: 19
; NumSGPRsForWavesPerEU: 54
; NumVGPRsForWavesPerEU: 158
; AccumOffset: 160
; Occupancy: 3
; WaveLimiterHint : 1
; COMPUTE_PGM_RSRC2:SCRATCH_EN: 0
; COMPUTE_PGM_RSRC2:USER_SGPR: 2
; COMPUTE_PGM_RSRC2:TRAP_HANDLER: 0
; COMPUTE_PGM_RSRC2:TGID_X_EN: 1
; COMPUTE_PGM_RSRC2:TGID_Y_EN: 0
; COMPUTE_PGM_RSRC2:TGID_Z_EN: 0
; COMPUTE_PGM_RSRC2:TIDIG_COMP_CNT: 0
; COMPUTE_PGM_RSRC3_GFX90A:ACCUM_OFFSET: 39
; COMPUTE_PGM_RSRC3_GFX90A:TG_SPLIT: 0
	.text
	.p2alignl 6, 3212836864
	.fill 256, 4, 3212836864
	.type	__hip_cuid_88dd2e7f89a9cec7,@object ; @__hip_cuid_88dd2e7f89a9cec7
	.section	.bss,"aw",@nobits
	.globl	__hip_cuid_88dd2e7f89a9cec7
__hip_cuid_88dd2e7f89a9cec7:
	.byte	0                               ; 0x0
	.size	__hip_cuid_88dd2e7f89a9cec7, 1

	.ident	"AMD clang version 19.0.0git (https://github.com/RadeonOpenCompute/llvm-project roc-6.4.0 25133 c7fe45cf4b819c5991fe208aaa96edf142730f1d)"
	.section	".note.GNU-stack","",@progbits
	.addrsig
	.addrsig_sym __hip_cuid_88dd2e7f89a9cec7
	.amdgpu_metadata
---
amdhsa.kernels:
  - .agpr_count:     0
    .args:
      - .actual_access:  read_only
        .address_space:  global
        .offset:         0
        .size:           8
        .value_kind:     global_buffer
      - .actual_access:  read_only
        .address_space:  global
        .offset:         8
        .size:           8
        .value_kind:     global_buffer
      - .actual_access:  read_only
        .address_space:  global
        .offset:         16
        .size:           8
        .value_kind:     global_buffer
      - .actual_access:  read_only
        .address_space:  global
        .offset:         24
        .size:           8
        .value_kind:     global_buffer
      - .actual_access:  read_only
        .address_space:  global
        .offset:         32
        .size:           8
        .value_kind:     global_buffer
      - .offset:         40
        .size:           8
        .value_kind:     by_value
      - .address_space:  global
        .offset:         48
        .size:           8
        .value_kind:     global_buffer
      - .address_space:  global
        .offset:         56
        .size:           8
        .value_kind:     global_buffer
      - .address_space:  global
        .offset:         64
        .size:           8
        .value_kind:     global_buffer
      - .address_space:  global
        .offset:         72
        .size:           8
        .value_kind:     global_buffer
      - .offset:         80
        .size:           4
        .value_kind:     by_value
      - .address_space:  global
        .offset:         88
        .size:           8
        .value_kind:     global_buffer
      - .address_space:  global
        .offset:         96
        .size:           8
        .value_kind:     global_buffer
    .group_segment_fixed_size: 11088
    .kernarg_segment_align: 8
    .kernarg_segment_size: 104
    .language:       OpenCL C
    .language_version:
      - 2
      - 0
    .max_flat_workgroup_size: 231
    .name:           bluestein_single_back_len462_dim1_sp_op_CI_CI
    .private_segment_fixed_size: 0
    .sgpr_count:     54
    .sgpr_spill_count: 0
    .symbol:         bluestein_single_back_len462_dim1_sp_op_CI_CI.kd
    .uniform_work_group_size: 1
    .uses_dynamic_stack: false
    .vgpr_count:     158
    .vgpr_spill_count: 0
    .wavefront_size: 64
amdhsa.target:   amdgcn-amd-amdhsa--gfx950
amdhsa.version:
  - 1
  - 2
...

	.end_amdgpu_metadata
